;; amdgpu-corpus repo=ROCm/rocFFT kind=compiled arch=gfx1030 opt=O3
	.text
	.amdgcn_target "amdgcn-amd-amdhsa--gfx1030"
	.amdhsa_code_object_version 6
	.protected	bluestein_single_back_len264_dim1_half_op_CI_CI ; -- Begin function bluestein_single_back_len264_dim1_half_op_CI_CI
	.globl	bluestein_single_back_len264_dim1_half_op_CI_CI
	.p2align	8
	.type	bluestein_single_back_len264_dim1_half_op_CI_CI,@function
bluestein_single_back_len264_dim1_half_op_CI_CI: ; @bluestein_single_back_len264_dim1_half_op_CI_CI
; %bb.0:
	s_load_dwordx4 s[8:11], s[4:5], 0x28
	v_mul_u32_u24_e32 v1, 0x7c2, v0
	s_mov_b32 s0, exec_lo
	v_lshrrev_b32_e32 v1, 16, v1
	v_mad_u64_u32 v[8:9], null, s6, 7, v[1:2]
	v_mov_b32_e32 v9, 0
	s_waitcnt lgkmcnt(0)
	v_cmpx_gt_u64_e64 s[8:9], v[8:9]
	s_cbranch_execz .LBB0_18
; %bb.1:
	s_clause 0x1
	s_load_dwordx4 s[0:3], s[4:5], 0x18
	s_load_dwordx4 s[12:15], s[4:5], 0x0
	v_mul_lo_u16 v1, v1, 33
	v_sub_nc_u16 v13, v0, v1
	v_and_b32_e32 v36, 0xffff, v13
	v_lshlrev_b32_e32 v41, 2, v36
	s_waitcnt lgkmcnt(0)
	s_load_dwordx4 s[16:19], s[0:1], 0x0
	s_waitcnt lgkmcnt(0)
	v_mad_u64_u32 v[0:1], null, s18, v8, 0
	v_mad_u64_u32 v[2:3], null, s16, v36, 0
	s_mul_i32 s0, s17, 0x84
	s_mul_hi_u32 s1, s16, 0x84
	s_mul_i32 s6, s16, 0x84
	s_add_i32 s1, s1, s0
	v_mad_u64_u32 v[4:5], null, s19, v8, v[1:2]
	v_mad_u64_u32 v[5:6], null, s17, v36, v[3:4]
	v_mov_b32_e32 v1, v4
	v_lshlrev_b64 v[0:1], 2, v[0:1]
	v_mov_b32_e32 v3, v5
	v_add_co_u32 v0, vcc_lo, s10, v0
	v_lshlrev_b64 v[2:3], 2, v[2:3]
	v_add_co_ci_u32_e32 v1, vcc_lo, s11, v1, vcc_lo
	v_add_co_u32 v0, vcc_lo, v0, v2
	v_add_co_ci_u32_e32 v1, vcc_lo, v1, v3, vcc_lo
	v_add_co_u32 v2, vcc_lo, v0, s6
	v_add_co_ci_u32_e32 v3, vcc_lo, s1, v1, vcc_lo
	s_clause 0x1
	global_load_dword v4, v[0:1], off
	global_load_dword v5, v[2:3], off
	v_add_co_u32 v0, vcc_lo, v2, s6
	v_add_co_ci_u32_e32 v1, vcc_lo, s1, v3, vcc_lo
	s_clause 0x4
	global_load_dword v38, v41, s[12:13]
	global_load_dword v37, v41, s[12:13] offset:132
	global_load_dword v35, v41, s[12:13] offset:264
	;; [unrolled: 1-line block ×4, first 2 shown]
	v_add_co_u32 v2, vcc_lo, v0, s6
	v_add_co_ci_u32_e32 v3, vcc_lo, s1, v1, vcc_lo
	s_clause 0x1
	global_load_dword v6, v[0:1], off
	global_load_dword v7, v[2:3], off
	v_add_co_u32 v0, vcc_lo, v2, s6
	v_add_co_ci_u32_e32 v1, vcc_lo, s1, v3, vcc_lo
	v_add_co_u32 v2, vcc_lo, v0, s6
	v_add_co_ci_u32_e32 v3, vcc_lo, s1, v1, vcc_lo
	global_load_dword v9, v[0:1], off
	v_add_co_u32 v0, vcc_lo, v2, s6
	v_add_co_ci_u32_e32 v1, vcc_lo, s1, v3, vcc_lo
	global_load_dword v10, v[2:3], off
	v_add_co_u32 v2, vcc_lo, v0, s6
	v_add_co_ci_u32_e32 v3, vcc_lo, s1, v1, vcc_lo
	global_load_dword v31, v41, s[12:13] offset:660
	global_load_dword v0, v[0:1], off
	global_load_dword v1, v[2:3], off
	s_clause 0x1
	global_load_dword v30, v41, s[12:13] offset:792
	global_load_dword v29, v41, s[12:13] offset:924
	v_mul_hi_u32 v2, 0x24924925, v8
	s_load_dwordx4 s[8:11], s[2:3], 0x0
	s_load_dwordx2 s[2:3], s[4:5], 0x38
	v_cmp_gt_u16_e32 vcc_lo, 22, v13
	v_sub_nc_u32_e32 v3, v8, v2
	v_lshrrev_b32_e32 v3, 1, v3
	v_add_nc_u32_e32 v2, v3, v2
	v_lshrrev_b32_e32 v2, 2, v2
	v_mul_lo_u32 v2, v2, 7
	v_sub_nc_u32_e32 v2, v8, v2
	v_mul_u32_u24_e32 v2, 0x108, v2
	v_lshlrev_b32_e32 v39, 2, v2
	v_add_nc_u32_e32 v33, v41, v39
	s_waitcnt vmcnt(15)
	v_lshrrev_b32_e32 v3, 16, v4
	s_waitcnt vmcnt(14)
	v_lshrrev_b32_e32 v12, 16, v5
	s_waitcnt vmcnt(13)
	v_mul_f16_sdwa v2, v38, v4 dst_sel:DWORD dst_unused:UNUSED_PAD src0_sel:WORD_1 src1_sel:DWORD
	v_mul_f16_sdwa v11, v38, v3 dst_sel:DWORD dst_unused:UNUSED_PAD src0_sel:WORD_1 src1_sel:DWORD
	v_fma_f16 v2, v38, v3, -v2
	s_waitcnt vmcnt(12)
	v_mul_f16_sdwa v3, v37, v5 dst_sel:DWORD dst_unused:UNUSED_PAD src0_sel:WORD_1 src1_sel:DWORD
	v_fmac_f16_e32 v11, v38, v4
	v_mul_f16_sdwa v4, v37, v12 dst_sel:DWORD dst_unused:UNUSED_PAD src0_sel:WORD_1 src1_sel:DWORD
	s_waitcnt vmcnt(8)
	v_lshrrev_b32_e32 v14, 16, v6
	v_mul_f16_sdwa v15, v35, v6 dst_sel:DWORD dst_unused:UNUSED_PAD src0_sel:WORD_1 src1_sel:DWORD
	v_fma_f16 v3, v37, v12, -v3
	s_waitcnt vmcnt(7)
	v_lshrrev_b32_e32 v12, 16, v7
	v_fmac_f16_e32 v4, v37, v5
	v_mul_f16_sdwa v5, v35, v14 dst_sel:DWORD dst_unused:UNUSED_PAD src0_sel:WORD_1 src1_sel:DWORD
	v_pack_b32_f16 v2, v11, v2
	v_fma_f16 v11, v35, v14, -v15
	v_mul_f16_sdwa v14, v34, v7 dst_sel:DWORD dst_unused:UNUSED_PAD src0_sel:WORD_1 src1_sel:DWORD
	v_pack_b32_f16 v3, v4, v3
	v_fmac_f16_e32 v5, v35, v6
	v_mul_f16_sdwa v6, v34, v12 dst_sel:DWORD dst_unused:UNUSED_PAD src0_sel:WORD_1 src1_sel:DWORD
	s_waitcnt vmcnt(6)
	v_lshrrev_b32_e32 v4, 16, v9
	v_fma_f16 v12, v34, v12, -v14
	v_mul_f16_sdwa v14, v32, v9 dst_sel:DWORD dst_unused:UNUSED_PAD src0_sel:WORD_1 src1_sel:DWORD
	v_pack_b32_f16 v5, v5, v11
	v_fmac_f16_e32 v6, v34, v7
	v_mul_f16_sdwa v11, v32, v4 dst_sel:DWORD dst_unused:UNUSED_PAD src0_sel:WORD_1 src1_sel:DWORD
	s_waitcnt vmcnt(5)
	v_lshrrev_b32_e32 v7, 16, v10
	v_fma_f16 v4, v32, v4, -v14
	s_waitcnt vmcnt(4)
	v_mul_f16_sdwa v14, v31, v10 dst_sel:DWORD dst_unused:UNUSED_PAD src0_sel:WORD_1 src1_sel:DWORD
	s_waitcnt vmcnt(2)
	v_lshrrev_b32_e32 v16, 16, v1
	v_fmac_f16_e32 v11, v32, v9
	v_lshrrev_b32_e32 v9, 16, v0
	v_mul_f16_sdwa v15, v31, v7 dst_sel:DWORD dst_unused:UNUSED_PAD src0_sel:WORD_1 src1_sel:DWORD
	v_fma_f16 v7, v31, v7, -v14
	s_waitcnt vmcnt(1)
	v_mul_f16_sdwa v14, v30, v0 dst_sel:DWORD dst_unused:UNUSED_PAD src0_sel:WORD_1 src1_sel:DWORD
	s_waitcnt vmcnt(0)
	v_mul_f16_sdwa v18, v29, v1 dst_sel:DWORD dst_unused:UNUSED_PAD src0_sel:WORD_1 src1_sel:DWORD
	v_mul_f16_sdwa v17, v30, v9 dst_sel:DWORD dst_unused:UNUSED_PAD src0_sel:WORD_1 src1_sel:DWORD
	;; [unrolled: 1-line block ×3, first 2 shown]
	v_fmac_f16_e32 v15, v31, v10
	v_fma_f16 v9, v30, v9, -v14
	v_pack_b32_f16 v4, v11, v4
	v_fmac_f16_e32 v17, v30, v0
	v_fma_f16 v0, v29, v16, -v18
	v_fmac_f16_e32 v19, v29, v1
	v_pack_b32_f16 v1, v6, v12
	v_pack_b32_f16 v6, v15, v7
	;; [unrolled: 1-line block ×3, first 2 shown]
	v_lshlrev_b16 v9, 3, v13
	v_pack_b32_f16 v0, v19, v0
	ds_write2_b32 v33, v2, v3 offset1:33
	ds_write2_b32 v33, v5, v1 offset0:66 offset1:99
	ds_write2_b32 v33, v4, v6 offset0:132 offset1:165
	ds_write2_b32 v33, v7, v0 offset0:198 offset1:231
	s_waitcnt lgkmcnt(0)
	s_barrier
	buffer_gl0_inv
	ds_read2_b32 v[0:1], v33 offset1:33
	ds_read2_b32 v[2:3], v33 offset0:66 offset1:99
	ds_read2_b32 v[4:5], v33 offset0:132 offset1:165
	;; [unrolled: 1-line block ×3, first 2 shown]
	v_and_b32_e32 v9, 0xffff, v9
	s_waitcnt lgkmcnt(0)
	s_barrier
	buffer_gl0_inv
	v_lshl_add_u32 v42, v9, 2, v39
	v_pk_add_f16 v4, v0, v4 neg_lo:[0,1] neg_hi:[0,1]
	v_pk_add_f16 v6, v2, v6 neg_lo:[0,1] neg_hi:[0,1]
	;; [unrolled: 1-line block ×4, first 2 shown]
	v_pk_fma_f16 v0, v0, 2.0, v4 op_sel_hi:[1,0,1] neg_lo:[0,0,1] neg_hi:[0,0,1]
	v_pk_fma_f16 v2, v2, 2.0, v6 op_sel_hi:[1,0,1] neg_lo:[0,0,1] neg_hi:[0,0,1]
	;; [unrolled: 1-line block ×4, first 2 shown]
	v_lshrrev_b32_e32 v9, 16, v4
	v_lshrrev_b32_e32 v12, 16, v5
	v_sub_f16_sdwa v10, v4, v6 dst_sel:DWORD dst_unused:UNUSED_PAD src0_sel:DWORD src1_sel:WORD_1
	v_sub_f16_sdwa v11, v5, v7 dst_sel:DWORD dst_unused:UNUSED_PAD src0_sel:DWORD src1_sel:WORD_1
	v_pk_add_f16 v2, v0, v2 neg_lo:[0,1] neg_hi:[0,1]
	v_add_f16_e32 v6, v9, v6
	v_pk_add_f16 v3, v1, v3 neg_lo:[0,1] neg_hi:[0,1]
	v_add_f16_e32 v7, v12, v7
	v_fma_f16 v14, v4, 2.0, -v10
	v_fma_f16 v5, v5, 2.0, -v11
	v_fmamk_f16 v22, v11, 0x39a8, v10
	v_pk_fma_f16 v15, v0, 2.0, v2 op_sel_hi:[1,0,1] neg_lo:[0,0,1] neg_hi:[0,0,1]
	v_fma_f16 v16, v9, 2.0, -v6
	v_pk_fma_f16 v0, v1, 2.0, v3 op_sel_hi:[1,0,1] neg_lo:[0,0,1] neg_hi:[0,0,1]
	v_fma_f16 v1, v12, 2.0, -v7
	v_lshrrev_b32_e32 v12, 16, v2
	v_fmamk_f16 v17, v5, 0xb9a8, v14
	v_fmamk_f16 v4, v7, 0x39a8, v6
	v_fmac_f16_e32 v22, 0xb9a8, v7
	v_fmamk_f16 v7, v1, 0xb9a8, v16
	v_sub_f16_sdwa v21, v2, v3 dst_sel:DWORD dst_unused:UNUSED_PAD src0_sel:DWORD src1_sel:WORD_1
	v_add_f16_e32 v46, v12, v3
	v_fmac_f16_e32 v17, 0xb9a8, v1
	v_fmac_f16_e32 v4, 0x39a8, v11
	;; [unrolled: 1-line block ×3, first 2 shown]
	v_fma_f16 v1, v2, 2.0, -v21
	v_fma_f16 v11, v12, 2.0, -v46
	v_pk_add_f16 v0, v15, v0 neg_lo:[0,1] neg_hi:[0,1]
	v_fma_f16 v10, v10, 2.0, -v22
	v_fma_f16 v5, v14, 2.0, -v17
	;; [unrolled: 1-line block ×4, first 2 shown]
	v_pack_b32_f16 v3, v22, v4
	v_pack_b32_f16 v2, v21, v46
	;; [unrolled: 1-line block ×4, first 2 shown]
	v_pk_fma_f16 v9, v15, 2.0, v0 op_sel_hi:[1,0,1] neg_lo:[0,0,1] neg_hi:[0,0,1]
	v_pack_b32_f16 v12, v10, v6
	v_pack_b32_f16 v10, v5, v14
	ds_write_b128 v42, v[0:3] offset:16
	ds_write_b128 v42, v[9:12]
	s_waitcnt lgkmcnt(0)
	s_barrier
	buffer_gl0_inv
	ds_read2_b32 v[23:24], v33 offset1:33
	ds_read2_b32 v[0:1], v33 offset0:88 offset1:121
	ds_read2_b32 v[2:3], v33 offset0:176 offset1:209
                                        ; implicit-def: $vgpr5
                                        ; implicit-def: $vgpr6
	s_and_saveexec_b32 s0, vcc_lo
	s_cbranch_execz .LBB0_3
; %bb.2:
	ds_read2_b32 v[21:22], v33 offset0:66 offset1:154
	ds_read_b32 v5, v33 offset:968
	s_waitcnt lgkmcnt(1)
	v_lshrrev_b32_e32 v46, 16, v21
	v_lshrrev_b32_e32 v4, 16, v22
	s_waitcnt lgkmcnt(0)
	v_lshrrev_b32_e32 v6, 16, v5
.LBB0_3:
	s_or_b32 exec_lo, exec_lo, s0
	v_and_b32_e32 v7, 7, v36
	v_add_nc_u32_e32 v15, 33, v36
	v_add_co_u32 v16, null, 0x42, v36
	v_lshrrev_b32_e32 v18, 3, v36
	v_lshlrev_b32_e32 v9, 3, v7
	v_and_b32_e32 v17, 7, v15
	v_and_b32_e32 v40, 7, v16
	v_lshrrev_b32_e32 v15, 3, v15
	v_mul_u32_u24_e32 v18, 24, v18
	global_load_dwordx2 v[11:12], v9, s[14:15]
	v_lshlrev_b32_e32 v9, 3, v17
	v_lshlrev_b32_e32 v10, 3, v40
	s_waitcnt lgkmcnt(1)
	v_lshrrev_b32_e32 v19, 16, v0
	s_waitcnt lgkmcnt(0)
	v_lshrrev_b32_e32 v20, 16, v2
	s_clause 0x1
	global_load_dwordx2 v[13:14], v9, s[14:15]
	global_load_dwordx2 v[9:10], v10, s[14:15]
	v_or_b32_e32 v7, v18, v7
	v_mul_u32_u24_e32 v15, 24, v15
	v_lshrrev_b32_e32 v25, 16, v1
	v_lshrrev_b32_e32 v26, 16, v3
	;; [unrolled: 1-line block ×3, first 2 shown]
	v_lshl_add_u32 v44, v7, 2, v39
	v_or_b32_e32 v7, v15, v17
	v_lshrrev_b32_e32 v49, 16, v23
	v_lshrrev_b32_e32 v47, 16, v24
	s_waitcnt vmcnt(0)
	s_barrier
	v_lshl_add_u32 v45, v7, 2, v39
	buffer_gl0_inv
	v_mul_f16_sdwa v15, v19, v11 dst_sel:DWORD dst_unused:UNUSED_PAD src0_sel:DWORD src1_sel:WORD_1
	v_mul_f16_sdwa v16, v0, v11 dst_sel:DWORD dst_unused:UNUSED_PAD src0_sel:DWORD src1_sel:WORD_1
	;; [unrolled: 1-line block ×5, first 2 shown]
	v_fma_f16 v0, v0, v11, -v15
	v_fmac_f16_e32 v16, v19, v11
	v_fma_f16 v2, v2, v12, -v17
	v_fmac_f16_e32 v18, v20, v12
	v_mul_f16_sdwa v15, v1, v13 dst_sel:DWORD dst_unused:UNUSED_PAD src0_sel:DWORD src1_sel:WORD_1
	v_mul_f16_sdwa v17, v26, v14 dst_sel:DWORD dst_unused:UNUSED_PAD src0_sel:DWORD src1_sel:WORD_1
	v_mul_f16_sdwa v19, v3, v14 dst_sel:DWORD dst_unused:UNUSED_PAD src0_sel:DWORD src1_sel:WORD_1
	v_mul_f16_sdwa v20, v4, v9 dst_sel:DWORD dst_unused:UNUSED_PAD src0_sel:DWORD src1_sel:WORD_1
	v_mul_f16_sdwa v27, v22, v9 dst_sel:DWORD dst_unused:UNUSED_PAD src0_sel:DWORD src1_sel:WORD_1
	v_mul_f16_sdwa v28, v6, v10 dst_sel:DWORD dst_unused:UNUSED_PAD src0_sel:DWORD src1_sel:WORD_1
	v_mul_f16_sdwa v50, v5, v10 dst_sel:DWORD dst_unused:UNUSED_PAD src0_sel:DWORD src1_sel:WORD_1
	v_fma_f16 v1, v1, v13, -v7
	v_fmac_f16_e32 v15, v25, v13
	v_fma_f16 v3, v3, v14, -v17
	v_fmac_f16_e32 v19, v26, v14
	;; [unrolled: 2-line block ×4, first 2 shown]
	v_add_f16_e32 v5, v23, v0
	v_add_f16_e32 v6, v0, v2
	v_sub_f16_e32 v20, v16, v18
	v_add_f16_e32 v22, v49, v16
	v_add_f16_e32 v16, v16, v18
	;; [unrolled: 1-line block ×3, first 2 shown]
	v_fma_f16 v25, -0.5, v6, v23
	v_add_f16_e32 v5, v1, v3
	v_sub_f16_e32 v6, v15, v19
	v_fmac_f16_e32 v49, -0.5, v16
	v_add_f16_e32 v16, v47, v15
	v_add_f16_e32 v15, v15, v19
	v_sub_f16_e32 v0, v0, v2
	v_add_f16_e32 v23, v7, v4
	v_add_f16_e32 v52, v27, v50
	;; [unrolled: 1-line block ×3, first 2 shown]
	v_sub_f16_e32 v1, v1, v3
	v_fmac_f16_e32 v24, -0.5, v5
	v_fmac_f16_e32 v47, -0.5, v15
	v_add_f16_e32 v48, v22, v18
	v_add_f16_e32 v22, v21, v7
	v_sub_f16_e32 v51, v27, v50
	v_add_f16_e32 v28, v46, v27
	v_sub_f16_e32 v7, v7, v4
	v_fmamk_f16 v18, v20, 0x3aee, v25
	v_fmamk_f16 v60, v0, 0xbaee, v49
	v_fmac_f16_e32 v21, -0.5, v23
	v_fmac_f16_e32 v46, -0.5, v52
	v_fmac_f16_e32 v25, 0xbaee, v20
	v_fmac_f16_e32 v49, 0x3aee, v0
	v_add_f16_e32 v26, v2, v3
	v_add_f16_e32 v61, v16, v19
	v_fmamk_f16 v23, v6, 0x3aee, v24
	v_fmamk_f16 v66, v1, 0xbaee, v47
	v_fmac_f16_e32 v24, 0xbaee, v6
	v_fmac_f16_e32 v47, 0x3aee, v1
	v_add_f16_e32 v27, v22, v4
	v_add_f16_e32 v65, v28, v50
	v_pack_b32_f16 v0, v17, v48
	v_fmamk_f16 v28, v51, 0x3aee, v21
	v_fmac_f16_e32 v21, 0xbaee, v51
	v_fmamk_f16 v67, v7, 0xbaee, v46
	v_pack_b32_f16 v1, v18, v60
	v_fmac_f16_e32 v46, 0x3aee, v7
	v_pack_b32_f16 v2, v25, v49
	v_pack_b32_f16 v3, v26, v61
	;; [unrolled: 1-line block ×4, first 2 shown]
	ds_write2_b32 v44, v0, v1 offset1:8
	ds_write_b32 v44, v2 offset:64
	ds_write2_b32 v45, v3, v4 offset1:8
	ds_write_b32 v45, v5 offset:64
	s_and_saveexec_b32 s0, vcc_lo
	s_cbranch_execz .LBB0_5
; %bb.4:
	v_mul_u32_u24_e32 v0, 24, v43
	v_perm_b32 v1, v65, v27, 0x5040100
	v_perm_b32 v2, v67, v28, 0x5040100
	;; [unrolled: 1-line block ×3, first 2 shown]
	v_or_b32_e32 v0, v0, v40
	v_lshl_add_u32 v0, v0, 2, v39
	ds_write2_b32 v0, v1, v2 offset1:8
	ds_write_b32 v0, v3 offset:64
.LBB0_5:
	s_or_b32 exec_lo, exec_lo, s0
	v_add_co_u32 v19, s0, s12, v41
	v_add_co_ci_u32_e64 v20, null, s13, 0, s0
	v_cmp_gt_u16_e64 s0, 24, v36
	s_waitcnt lgkmcnt(0)
	s_barrier
	buffer_gl0_inv
                                        ; implicit-def: $vgpr69
                                        ; implicit-def: $vgpr68
                                        ; implicit-def: $vgpr70
	s_and_saveexec_b32 s1, s0
	s_cbranch_execz .LBB0_7
; %bb.6:
	ds_read2_b32 v[17:18], v33 offset1:24
	ds_read2_b32 v[25:26], v33 offset0:48 offset1:72
	ds_read2_b32 v[23:24], v33 offset0:96 offset1:120
	ds_read2_b32 v[27:28], v33 offset0:144 offset1:168
	ds_read2_b32 v[21:22], v33 offset0:192 offset1:216
	ds_read_b32 v68, v33 offset:960
	s_waitcnt lgkmcnt(5)
	v_lshrrev_b32_e32 v48, 16, v17
	v_lshrrev_b32_e32 v60, 16, v18
	s_waitcnt lgkmcnt(4)
	v_lshrrev_b32_e32 v49, 16, v25
	v_lshrrev_b32_e32 v61, 16, v26
	;; [unrolled: 3-line block ×5, first 2 shown]
	s_waitcnt lgkmcnt(0)
	v_lshrrev_b32_e32 v70, 16, v68
.LBB0_7:
	s_or_b32 exec_lo, exec_lo, s1
	v_subrev_nc_u32_e32 v0, 24, v36
	v_cndmask_b32_e64 v0, v0, v36, s0
	v_mul_i32_i24_e32 v1, 40, v0
	v_mul_hi_i32_i24_e32 v0, 40, v0
	v_add_co_u32 v15, s1, s14, v1
	v_add_co_ci_u32_e64 v16, s1, s15, v0, s1
	s_clause 0x2
	global_load_dwordx4 v[4:7], v[15:16], off offset:64
	global_load_dwordx4 v[0:3], v[15:16], off offset:80
	global_load_dwordx2 v[15:16], v[15:16], off offset:96
	s_waitcnt vmcnt(2)
	v_mul_f16_sdwa v62, v60, v4 dst_sel:DWORD dst_unused:UNUSED_PAD src0_sel:DWORD src1_sel:WORD_1
	v_mul_f16_sdwa v59, v18, v4 dst_sel:DWORD dst_unused:UNUSED_PAD src0_sel:DWORD src1_sel:WORD_1
	;; [unrolled: 1-line block ×4, first 2 shown]
	s_waitcnt vmcnt(0)
	v_mul_f16_sdwa v78, v70, v16 dst_sel:DWORD dst_unused:UNUSED_PAD src0_sel:DWORD src1_sel:WORD_1
	v_mul_f16_sdwa v51, v68, v16 dst_sel:DWORD dst_unused:UNUSED_PAD src0_sel:DWORD src1_sel:WORD_1
	;; [unrolled: 1-line block ×8, first 2 shown]
	v_fma_f16 v64, v18, v4, -v62
	v_fmac_f16_e32 v59, v60, v4
	v_fmac_f16_e32 v57, v61, v6
	v_fma_f16 v61, v23, v7, -v72
	v_fma_f16 v23, v68, v16, -v78
	v_fmac_f16_e32 v51, v70, v16
	v_mul_f16_sdwa v73, v47, v0 dst_sel:DWORD dst_unused:UNUSED_PAD src0_sel:DWORD src1_sel:WORD_1
	v_mul_f16_sdwa v74, v65, v1 dst_sel:DWORD dst_unused:UNUSED_PAD src0_sel:DWORD src1_sel:WORD_1
	;; [unrolled: 1-line block ×5, first 2 shown]
	v_fma_f16 v63, v25, v5, -v63
	v_fmac_f16_e32 v58, v49, v5
	v_fma_f16 v22, v22, v15, -v77
	v_fmac_f16_e32 v50, v69, v15
	v_sub_f16_e32 v77, v64, v23
	v_sub_f16_e32 v93, v59, v51
	v_mul_f16_sdwa v55, v24, v0 dst_sel:DWORD dst_unused:UNUSED_PAD src0_sel:DWORD src1_sel:WORD_1
	v_mul_f16_sdwa v54, v27, v1 dst_sel:DWORD dst_unused:UNUSED_PAD src0_sel:DWORD src1_sel:WORD_1
	;; [unrolled: 1-line block ×3, first 2 shown]
	v_fma_f16 v62, v26, v6, -v71
	v_fma_f16 v60, v24, v0, -v73
	;; [unrolled: 1-line block ×3, first 2 shown]
	v_fmac_f16_e32 v53, v67, v2
	v_fma_f16 v24, v21, v3, -v76
	v_fmac_f16_e32 v52, v46, v3
	v_add_f16_e32 v27, v64, v23
	v_add_f16_e32 v101, v59, v51
	v_sub_f16_e32 v82, v63, v22
	v_sub_f16_e32 v96, v58, v50
	v_mul_f16_e32 v67, 0xb853, v93
	v_mul_f16_e32 v73, 0xb853, v77
	;; [unrolled: 1-line block ×6, first 2 shown]
	v_fmac_f16_e32 v56, v66, v7
	v_fma_f16 v25, v28, v2, -v75
	v_add_f16_e32 v75, v63, v22
	v_add_f16_e32 v107, v58, v50
	v_sub_f16_e32 v108, v57, v52
	v_sub_f16_e32 v90, v62, v24
	v_mul_f16_e32 v68, 0xbb47, v96
	v_mul_f16_e32 v74, 0xbb47, v82
	;; [unrolled: 1-line block ×6, first 2 shown]
	v_fmamk_f16 v18, v27, 0x3abb, v67
	v_fma_f16 v21, v101, 0x3abb, -v73
	v_fmamk_f16 v28, v27, 0x36a6, v87
	v_fma_f16 v46, v101, 0x36a6, -v91
	;; [unrolled: 2-line block ×3, first 2 shown]
	v_fmac_f16_e32 v55, v47, v0
	v_fmac_f16_e32 v54, v65, v1
	v_add_f16_e32 v84, v62, v24
	v_add_f16_e32 v113, v57, v52
	v_sub_f16_e32 v110, v56, v53
	v_sub_f16_e32 v94, v61, v25
	v_mul_f16_e32 v69, 0xbbeb, v108
	v_mul_f16_e32 v70, 0xbbeb, v90
	;; [unrolled: 1-line block ×6, first 2 shown]
	v_fmamk_f16 v47, v75, 0x36a6, v68
	v_fma_f16 v49, v107, 0x36a6, -v74
	v_fmamk_f16 v114, v75, 0xb93d, v78
	v_fma_f16 v116, v107, 0xb93d, -v92
	;; [unrolled: 2-line block ×3, first 2 shown]
	v_add_f16_e32 v18, v17, v18
	v_add_f16_e32 v21, v48, v21
	;; [unrolled: 1-line block ×8, first 2 shown]
	v_sub_f16_e32 v111, v55, v54
	v_sub_f16_e32 v100, v60, v26
	v_mul_f16_e32 v65, 0xba0c, v110
	v_mul_f16_e32 v71, 0xba0c, v94
	;; [unrolled: 1-line block ×6, first 2 shown]
	v_fmamk_f16 v120, v84, 0xb08e, v69
	v_fma_f16 v121, v113, 0xb08e, -v70
	v_fmamk_f16 v122, v84, 0xbbad, v79
	v_fma_f16 v123, v113, 0xbbad, -v88
	;; [unrolled: 2-line block ×3, first 2 shown]
	v_add_f16_e32 v18, v47, v18
	v_add_f16_e32 v21, v49, v21
	v_add_f16_e32 v28, v114, v28
	v_add_f16_e32 v46, v116, v46
	v_add_f16_e32 v47, v117, v115
	v_add_f16_e32 v49, v119, v118
	v_add_f16_e32 v89, v60, v26
	v_add_f16_e32 v109, v55, v54
	v_mul_f16_e32 v66, 0xb482, v111
	v_mul_f16_e32 v72, 0xb482, v100
	;; [unrolled: 1-line block ×6, first 2 shown]
	v_fmamk_f16 v126, v86, 0xb93d, v65
	v_fma_f16 v127, v112, 0xb93d, -v71
	v_fmamk_f16 v128, v86, 0xb08e, v80
	v_fma_f16 v129, v112, 0xb08e, -v83
	;; [unrolled: 2-line block ×3, first 2 shown]
	v_add_f16_e32 v18, v120, v18
	v_add_f16_e32 v21, v121, v21
	v_add_f16_e32 v28, v122, v28
	v_add_f16_e32 v46, v123, v46
	v_add_f16_e32 v47, v124, v47
	v_add_f16_e32 v49, v125, v49
	v_fmamk_f16 v132, v89, 0xbbad, v66
	v_fma_f16 v133, v109, 0xbbad, -v72
	v_fma_f16 v134, v109, 0x3abb, -v81
	;; [unrolled: 1-line block ×3, first 2 shown]
	v_fmamk_f16 v136, v89, 0x3abb, v76
	v_fmamk_f16 v137, v89, 0xb93d, v85
	v_add_f16_e32 v18, v126, v18
	v_add_f16_e32 v21, v127, v21
	;; [unrolled: 1-line block ×12, first 2 shown]
	s_and_saveexec_b32 s1, s0
	s_cbranch_execz .LBB0_9
; %bb.8:
	v_mul_f16_e32 v122, 0xb93d, v101
	v_mul_f16_e32 v128, 0xb08e, v107
	;; [unrolled: 1-line block ×5, first 2 shown]
	v_fmamk_f16 v127, v77, 0x3a0c, v122
	v_fmamk_f16 v132, v82, 0xbbeb, v128
	v_mul_f16_e32 v115, 0x3abb, v101
	v_mul_f16_e32 v117, 0x36a6, v101
	;; [unrolled: 1-line block ×3, first 2 shown]
	v_add_f16_e32 v127, v48, v127
	v_fmamk_f16 v143, v27, 0xb93d, v140
	v_mul_f16_e32 v144, 0x3beb, v96
	v_mul_f16_e32 v101, 0xbbad, v101
	;; [unrolled: 1-line block ×3, first 2 shown]
	v_add_f16_e32 v127, v132, v127
	v_fmamk_f16 v132, v90, 0x3853, v133
	v_mul_f16_e32 v124, 0xb93d, v107
	v_mul_f16_e32 v126, 0xbbad, v107
	v_add_f16_e32 v143, v17, v143
	v_fmamk_f16 v145, v75, 0xb08e, v144
	v_add_f16_e32 v127, v132, v127
	v_fmamk_f16 v132, v94, 0x3482, v137
	v_mul_f16_e32 v146, 0xb853, v108
	v_fmamk_f16 v148, v77, 0x3482, v101
	v_mul_f16_e32 v107, 0x3abb, v107
	v_fmac_f16_e32 v101, 0xb482, v77
	v_add_f16_e32 v127, v132, v127
	v_mul_f16_e32 v132, 0x36a6, v109
	v_mul_f16_e32 v130, 0xb08e, v113
	;; [unrolled: 1-line block ×4, first 2 shown]
	v_add_f16_e32 v143, v145, v143
	v_fmamk_f16 v147, v100, 0xbb47, v132
	v_fmamk_f16 v145, v84, 0x3abb, v146
	v_mul_f16_e32 v149, 0xb482, v110
	v_add_f16_e32 v148, v48, v148
	v_fmamk_f16 v150, v82, 0xb853, v107
	v_mul_f16_e32 v113, 0xb93d, v113
	v_add_f16_e32 v101, v48, v101
	v_fmac_f16_e32 v107, 0x3853, v82
	v_add_f16_e32 v143, v145, v143
	v_fmamk_f16 v145, v86, 0xbbad, v149
	v_add_f16_e32 v127, v147, v127
	v_add_f16_e32 v147, v150, v148
	v_fmamk_f16 v148, v90, 0x3a0c, v113
	v_mul_f16_e32 v150, 0x36a6, v112
	v_add_f16_e32 v101, v107, v101
	v_fmac_f16_e32 v113, 0xba0c, v90
	v_add_f16_e32 v143, v145, v143
	v_mul_f16_e32 v145, 0x3b47, v111
	v_mul_f16_e32 v93, 0xb482, v93
	v_add_f16_e32 v147, v148, v147
	v_fmamk_f16 v148, v94, 0xbb47, v150
	v_mul_f16_e32 v151, 0xb08e, v109
	v_add_f16_e32 v101, v113, v101
	v_fmac_f16_e32 v150, 0x3b47, v94
	v_add_f16_e32 v64, v17, v64
	v_add_f16_e32 v59, v48, v59
	v_mul_f16_e32 v114, 0x3abb, v27
	v_mul_f16_e32 v116, 0x36a6, v27
	;; [unrolled: 1-line block ×3, first 2 shown]
	v_fmamk_f16 v152, v89, 0x36a6, v145
	v_fmamk_f16 v153, v27, 0xbbad, v93
	v_mul_f16_e32 v96, 0x3853, v96
	v_add_f16_e32 v147, v148, v147
	v_fmamk_f16 v148, v100, 0x3beb, v151
	v_fma_f16 v93, v27, 0xbbad, -v93
	v_add_f16_e32 v101, v150, v101
	v_fmac_f16_e32 v151, 0xbbeb, v100
	v_fma_f16 v27, v27, 0xb93d, -v140
	v_add_f16_e32 v63, v64, v63
	v_add_f16_e32 v58, v59, v58
	v_mul_f16_e32 v120, 0x36a6, v75
	v_mul_f16_e32 v123, 0xb93d, v75
	;; [unrolled: 1-line block ×3, first 2 shown]
	v_add_f16_e32 v143, v152, v143
	v_add_f16_e32 v152, v17, v153
	v_fmamk_f16 v153, v75, 0x3abb, v96
	v_mul_f16_e32 v108, 0xba0c, v108
	v_add_f16_e32 v93, v17, v93
	v_fma_f16 v96, v75, 0x3abb, -v96
	v_fmac_f16_e32 v137, 0xb482, v94
	v_add_f16_e32 v27, v17, v27
	v_fma_f16 v75, v75, 0xb08e, -v144
	v_add_f16_e32 v94, v151, v101
	v_add_f16_e32 v101, v105, v119
	;; [unrolled: 1-line block ×4, first 2 shown]
	v_mul_f16_e32 v129, 0xb08e, v84
	v_mul_f16_e32 v131, 0xbbad, v84
	;; [unrolled: 1-line block ×3, first 2 shown]
	v_add_f16_e32 v152, v153, v152
	v_fmamk_f16 v153, v84, 0xb93d, v108
	v_mul_f16_e32 v110, 0x3b47, v110
	v_add_f16_e32 v93, v96, v93
	v_fma_f16 v108, v84, 0xb93d, -v108
	v_add_f16_e32 v27, v75, v27
	v_fma_f16 v75, v84, 0x3abb, -v146
	v_add_f16_e32 v84, v48, v101
	v_add_f16_e32 v101, v106, v126
	v_sub_f16_e32 v97, v118, v97
	v_add_f16_e32 v61, v62, v61
	v_add_f16_e32 v56, v57, v56
	v_mul_f16_e32 v138, 0xb93d, v86
	v_mul_f16_e32 v139, 0xb93d, v112
	v_mul_f16_e32 v141, 0xb08e, v86
	v_mul_f16_e32 v142, 0xb08e, v112
	v_add_f16_e32 v147, v148, v147
	v_mul_f16_e32 v148, 0x3abb, v86
	v_mul_f16_e32 v112, 0x3abb, v112
	v_add_f16_e32 v152, v153, v152
	v_fmamk_f16 v153, v86, 0x36a6, v110
	v_add_f16_e32 v93, v108, v93
	v_fma_f16 v108, v86, 0x36a6, -v110
	v_add_f16_e32 v27, v75, v27
	v_fma_f16 v75, v86, 0xbbad, -v149
	v_add_f16_e32 v84, v101, v84
	v_add_f16_e32 v86, v102, v136
	;; [unrolled: 1-line block ×3, first 2 shown]
	v_sub_f16_e32 v98, v125, v98
	v_add_f16_e32 v60, v61, v60
	v_add_f16_e32 v55, v56, v55
	;; [unrolled: 1-line block ×3, first 2 shown]
	v_mul_f16_e32 v153, 0xbbad, v109
	v_mul_f16_e32 v96, 0x3abb, v109
	v_fmac_f16_e32 v122, 0xba0c, v77
	v_mul_f16_e32 v109, 0xb93d, v109
	v_add_f16_e32 v27, v75, v27
	v_add_f16_e32 v75, v86, v84
	;; [unrolled: 1-line block ×4, first 2 shown]
	v_sub_f16_e32 v97, v135, v99
	v_add_f16_e32 v91, v91, v117
	v_sub_f16_e32 v87, v116, v87
	v_add_f16_e32 v62, v73, v115
	;; [unrolled: 2-line block ×3, first 2 shown]
	v_add_f16_e32 v54, v55, v54
	v_add_f16_e32 v122, v48, v122
	;; [unrolled: 1-line block ×5, first 2 shown]
	v_sub_f16_e32 v95, v148, v95
	v_add_f16_e32 v91, v48, v91
	v_add_f16_e32 v92, v92, v124
	;; [unrolled: 1-line block ×3, first 2 shown]
	v_sub_f16_e32 v78, v123, v78
	v_add_f16_e32 v48, v48, v62
	v_add_f16_e32 v61, v74, v121
	;; [unrolled: 1-line block ×3, first 2 shown]
	v_sub_f16_e32 v55, v120, v68
	v_add_f16_e32 v25, v26, v25
	v_add_f16_e32 v26, v54, v53
	v_fmac_f16_e32 v128, 0x3beb, v82
	v_add_f16_e32 v75, v84, v75
	v_add_f16_e32 v84, v95, v86
	v_add_f16_e32 v86, v92, v91
	v_add_f16_e32 v88, v88, v134
	v_add_f16_e32 v59, v78, v87
	v_sub_f16_e32 v64, v131, v79
	v_add_f16_e32 v48, v61, v48
	v_add_f16_e32 v53, v70, v130
	;; [unrolled: 1-line block ×3, first 2 shown]
	v_sub_f16_e32 v54, v129, v69
	v_add_f16_e32 v24, v25, v24
	v_add_f16_e32 v25, v26, v52
	v_mul_f16_e32 v111, 0xbbeb, v111
	v_add_f16_e32 v110, v128, v122
	v_fmac_f16_e32 v133, 0xb853, v90
	v_mul_f16_e32 v107, 0xbbad, v89
	v_mul_f16_e32 v113, 0x3abb, v89
	v_add_f16_e32 v86, v88, v86
	v_add_f16_e32 v83, v83, v142
	v_add_f16_e32 v59, v64, v59
	v_sub_f16_e32 v63, v141, v80
	v_add_f16_e32 v26, v53, v48
	v_add_f16_e32 v48, v71, v139
	;; [unrolled: 1-line block ×5, first 2 shown]
	v_sub_f16_e32 v25, v138, v65
	v_mul_f16_e32 v77, 0xb93d, v89
	v_add_f16_e32 v90, v108, v93
	v_fma_f16 v93, v89, 0xb08e, -v111
	v_add_f16_e32 v108, v133, v110
	v_add_f16_e32 v58, v83, v86
	;; [unrolled: 1-line block ×9, first 2 shown]
	v_sub_f16_e32 v24, v107, v66
	v_sub_f16_e32 v25, v113, v76
	v_fmamk_f16 v82, v89, 0xb08e, v111
	v_add_f16_e32 v90, v93, v90
	v_add_f16_e32 v93, v137, v108
	v_fmac_f16_e32 v132, 0x3b47, v100
	v_fma_f16 v89, v89, 0x36a6, -v145
	v_sub_f16_e32 v77, v77, v85
	v_add_f16_e32 v50, v57, v58
	v_pack_b32_f16 v22, v22, v23
	v_add_f16_e32 v23, v48, v26
	v_add_f16_e32 v17, v24, v17
	;; [unrolled: 1-line block ×7, first 2 shown]
	ds_write_b32 v33, v22
	v_lshl_add_u32 v22, v36, 2, v39
	v_pack_b32_f16 v17, v17, v23
	v_pack_b32_f16 v23, v24, v50
	;; [unrolled: 1-line block ×7, first 2 shown]
	v_perm_b32 v50, v49, v21, 0x5040100
	v_perm_b32 v51, v28, v18, 0x5040100
	;; [unrolled: 1-line block ×3, first 2 shown]
	ds_write2_b32 v22, v17, v23 offset0:24 offset1:48
	ds_write2_b32 v22, v24, v25 offset0:72 offset1:96
	;; [unrolled: 1-line block ×5, first 2 shown]
.LBB0_9:
	s_or_b32 exec_lo, exec_lo, s1
	s_add_u32 s4, s12, 0x420
	s_addc_u32 s5, s13, 0
	s_waitcnt lgkmcnt(0)
	s_barrier
	buffer_gl0_inv
	s_clause 0x7
	global_load_dword v17, v[19:20], off offset:1056
	global_load_dword v20, v41, s[4:5] offset:132
	global_load_dword v48, v41, s[4:5] offset:264
	global_load_dword v50, v41, s[4:5] offset:396
	global_load_dword v51, v41, s[4:5] offset:528
	global_load_dword v52, v41, s[4:5] offset:660
	global_load_dword v53, v41, s[4:5] offset:792
	global_load_dword v41, v41, s[4:5] offset:924
	v_lshl_add_u32 v19, v36, 2, v39
	ds_read2_b32 v[22:23], v33 offset1:33
	ds_read2_b32 v[24:25], v33 offset0:99 offset1:132
	ds_read2_b32 v[26:27], v33 offset0:165 offset1:198
	ds_read_b32 v54, v19 offset:264
	ds_read_b32 v55, v33 offset:924
	s_waitcnt lgkmcnt(3)
	v_lshrrev_b32_e32 v58, 16, v24
	v_lshrrev_b32_e32 v56, 16, v22
	;; [unrolled: 1-line block ×3, first 2 shown]
	s_waitcnt lgkmcnt(1)
	v_lshrrev_b32_e32 v62, 16, v54
	v_lshrrev_b32_e32 v59, 16, v25
	;; [unrolled: 1-line block ×4, first 2 shown]
	s_waitcnt lgkmcnt(0)
	v_lshrrev_b32_e32 v63, 16, v55
	s_waitcnt vmcnt(7)
	v_mul_f16_sdwa v64, v56, v17 dst_sel:DWORD dst_unused:UNUSED_PAD src0_sel:DWORD src1_sel:WORD_1
	v_mul_f16_sdwa v65, v22, v17 dst_sel:DWORD dst_unused:UNUSED_PAD src0_sel:DWORD src1_sel:WORD_1
	s_waitcnt vmcnt(6)
	v_mul_f16_sdwa v66, v57, v20 dst_sel:DWORD dst_unused:UNUSED_PAD src0_sel:DWORD src1_sel:WORD_1
	v_mul_f16_sdwa v67, v23, v20 dst_sel:DWORD dst_unused:UNUSED_PAD src0_sel:DWORD src1_sel:WORD_1
	;; [unrolled: 3-line block ×8, first 2 shown]
	v_fma_f16 v22, v22, v17, -v64
	v_fmac_f16_e32 v65, v56, v17
	v_fma_f16 v17, v23, v20, -v66
	v_fmac_f16_e32 v67, v57, v20
	;; [unrolled: 2-line block ×8, first 2 shown]
	v_pack_b32_f16 v22, v22, v65
	v_pack_b32_f16 v17, v17, v67
	;; [unrolled: 1-line block ×8, first 2 shown]
	ds_write2_b32 v33, v22, v17 offset1:33
	ds_write_b32 v19, v20 offset:264
	ds_write2_b32 v33, v23, v24 offset0:99 offset1:132
	ds_write2_b32 v33, v25, v26 offset0:165 offset1:198
	ds_write_b32 v33, v27 offset:924
	s_waitcnt lgkmcnt(0)
	s_barrier
	buffer_gl0_inv
	ds_read2_b32 v[22:23], v33 offset1:33
	ds_read2_b32 v[24:25], v33 offset0:99 offset1:132
	ds_read2_b32 v[26:27], v33 offset0:165 offset1:198
	ds_read_b32 v17, v19 offset:264
	ds_read_b32 v20, v33 offset:924
	s_waitcnt lgkmcnt(0)
	s_barrier
	buffer_gl0_inv
	v_pk_add_f16 v25, v22, v25 neg_lo:[0,1] neg_hi:[0,1]
	v_pk_add_f16 v26, v23, v26 neg_lo:[0,1] neg_hi:[0,1]
	;; [unrolled: 1-line block ×4, first 2 shown]
	v_pk_fma_f16 v22, v22, 2.0, v25 op_sel_hi:[1,0,1] neg_lo:[0,0,1] neg_hi:[0,0,1]
	v_pk_fma_f16 v23, v23, 2.0, v26 op_sel_hi:[1,0,1] neg_lo:[0,0,1] neg_hi:[0,0,1]
	;; [unrolled: 1-line block ×4, first 2 shown]
	v_lshrrev_b32_e32 v41, 16, v25
	v_lshrrev_b32_e32 v50, 16, v26
	v_add_f16_sdwa v48, v25, v27 dst_sel:DWORD dst_unused:UNUSED_PAD src0_sel:DWORD src1_sel:WORD_1
	v_add_f16_sdwa v51, v26, v20 dst_sel:DWORD dst_unused:UNUSED_PAD src0_sel:DWORD src1_sel:WORD_1
	v_pk_add_f16 v52, v22, v17 neg_lo:[0,1] neg_hi:[0,1]
	v_sub_f16_e32 v27, v41, v27
	v_pk_add_f16 v24, v23, v24 neg_lo:[0,1] neg_hi:[0,1]
	v_sub_f16_e32 v53, v50, v20
	v_fma_f16 v25, v25, 2.0, -v48
	v_fma_f16 v26, v26, 2.0, -v51
	v_pk_fma_f16 v54, v22, 2.0, v52 op_sel_hi:[1,0,1] neg_lo:[0,0,1] neg_hi:[0,0,1]
	v_fma_f16 v55, v41, 2.0, -v27
	v_pk_fma_f16 v22, v23, 2.0, v24 op_sel_hi:[1,0,1] neg_lo:[0,0,1] neg_hi:[0,0,1]
	v_fma_f16 v23, v50, 2.0, -v53
	v_lshrrev_b32_e32 v57, 16, v52
	v_fmamk_f16 v20, v51, 0x39a8, v48
	v_fmamk_f16 v56, v26, 0xb9a8, v25
	;; [unrolled: 1-line block ×4, first 2 shown]
	v_add_f16_sdwa v17, v52, v24 dst_sel:DWORD dst_unused:UNUSED_PAD src0_sel:DWORD src1_sel:WORD_1
	v_sub_f16_e32 v41, v57, v24
	v_fmac_f16_e32 v20, 0x39a8, v53
	v_fmac_f16_e32 v56, 0x39a8, v23
	;; [unrolled: 1-line block ×4, first 2 shown]
	v_fma_f16 v23, v52, 2.0, -v17
	v_fma_f16 v52, v57, 2.0, -v41
	v_pk_add_f16 v22, v54, v22 neg_lo:[0,1] neg_hi:[0,1]
	v_fma_f16 v48, v48, 2.0, -v20
	v_fma_f16 v26, v25, 2.0, -v56
	;; [unrolled: 1-line block ×4, first 2 shown]
	v_pack_b32_f16 v25, v20, v50
	v_pack_b32_f16 v24, v17, v41
	;; [unrolled: 1-line block ×4, first 2 shown]
	v_pk_fma_f16 v51, v54, 2.0, v22 op_sel_hi:[1,0,1] neg_lo:[0,0,1] neg_hi:[0,0,1]
	v_pack_b32_f16 v54, v48, v27
	v_pack_b32_f16 v52, v26, v55
	ds_write_b128 v42, v[22:25] offset:16
	ds_write_b128 v42, v[51:54]
	s_waitcnt lgkmcnt(0)
	s_barrier
	buffer_gl0_inv
	ds_read2_b32 v[22:23], v33 offset1:33
	ds_read2_b32 v[26:27], v33 offset0:88 offset1:121
	ds_read2_b32 v[24:25], v33 offset0:176 offset1:209
	s_and_saveexec_b32 s1, vcc_lo
	s_cbranch_execz .LBB0_11
; %bb.10:
	ds_read_b32 v17, v19 offset:264
	ds_read2_b32 v[20:21], v33 offset0:154 offset1:242
	s_waitcnt lgkmcnt(1)
	v_lshrrev_b32_e32 v41, 16, v17
	s_waitcnt lgkmcnt(0)
	v_lshrrev_b32_e32 v50, 16, v20
	v_lshrrev_b32_e32 v49, 16, v21
.LBB0_11:
	s_or_b32 exec_lo, exec_lo, s1
	s_waitcnt lgkmcnt(1)
	v_lshrrev_b32_e32 v51, 16, v26
	s_waitcnt lgkmcnt(0)
	v_lshrrev_b32_e32 v52, 16, v24
	v_lshrrev_b32_e32 v53, 16, v27
	v_mul_f16_sdwa v55, v11, v26 dst_sel:DWORD dst_unused:UNUSED_PAD src0_sel:WORD_1 src1_sel:DWORD
	v_mul_f16_sdwa v58, v12, v24 dst_sel:DWORD dst_unused:UNUSED_PAD src0_sel:WORD_1 src1_sel:DWORD
	;; [unrolled: 1-line block ×4, first 2 shown]
	v_lshrrev_b32_e32 v56, 16, v25
	v_lshrrev_b32_e32 v48, 16, v22
	;; [unrolled: 1-line block ×3, first 2 shown]
	v_fmac_f16_e32 v54, v11, v26
	v_fma_f16 v26, v11, v51, -v55
	v_mul_f16_sdwa v51, v13, v53 dst_sel:DWORD dst_unused:UNUSED_PAD src0_sel:WORD_1 src1_sel:DWORD
	v_mul_f16_sdwa v11, v13, v27 dst_sel:DWORD dst_unused:UNUSED_PAD src0_sel:WORD_1 src1_sel:DWORD
	v_fmac_f16_e32 v57, v12, v24
	v_fma_f16 v12, v12, v52, -v58
	v_mul_f16_sdwa v52, v9, v50 dst_sel:DWORD dst_unused:UNUSED_PAD src0_sel:WORD_1 src1_sel:DWORD
	v_fmac_f16_e32 v51, v13, v27
	v_fma_f16 v13, v13, v53, -v11
	v_mul_f16_sdwa v11, v9, v20 dst_sel:DWORD dst_unused:UNUSED_PAD src0_sel:WORD_1 src1_sel:DWORD
	v_mul_f16_sdwa v53, v10, v49 dst_sel:DWORD dst_unused:UNUSED_PAD src0_sel:WORD_1 src1_sel:DWORD
	;; [unrolled: 1-line block ×3, first 2 shown]
	v_fmac_f16_e32 v52, v9, v20
	v_mul_f16_sdwa v20, v10, v21 dst_sel:DWORD dst_unused:UNUSED_PAD src0_sel:WORD_1 src1_sel:DWORD
	v_fma_f16 v50, v9, v50, -v11
	v_add_f16_e32 v9, v54, v57
	v_fmac_f16_e32 v53, v10, v21
	v_add_f16_e32 v21, v22, v54
	v_mul_f16_sdwa v27, v14, v25 dst_sel:DWORD dst_unused:UNUSED_PAD src0_sel:WORD_1 src1_sel:DWORD
	v_fmac_f16_e32 v24, v14, v25
	v_fma_f16 v49, v10, v49, -v20
	v_add_f16_e32 v10, v26, v12
	v_fma_f16 v11, -0.5, v9, v22
	v_sub_f16_e32 v20, v26, v12
	v_add_f16_e32 v9, v21, v57
	v_add_f16_e32 v21, v48, v26
	v_fma_f16 v14, v14, v56, -v27
	v_fmac_f16_e32 v48, -0.5, v10
	v_sub_f16_e32 v22, v54, v57
	v_fmamk_f16 v10, v20, 0xbaee, v11
	v_fmac_f16_e32 v11, 0x3aee, v20
	v_add_f16_e32 v20, v21, v12
	v_add_f16_e32 v12, v51, v24
	v_fmamk_f16 v27, v22, 0x3aee, v48
	v_add_f16_e32 v21, v23, v51
	v_fmac_f16_e32 v48, 0xbaee, v22
	v_add_f16_e32 v22, v13, v14
	v_fmac_f16_e32 v23, -0.5, v12
	v_sub_f16_e32 v25, v13, v14
	v_add_f16_e32 v13, v42, v13
	v_add_f16_e32 v12, v21, v24
	v_fmac_f16_e32 v42, -0.5, v22
	v_sub_f16_e32 v21, v51, v24
	v_fmamk_f16 v22, v25, 0xbaee, v23
	v_fmac_f16_e32 v23, 0x3aee, v25
	v_add_f16_e32 v25, v13, v14
	v_add_f16_e32 v13, v53, v52
	;; [unrolled: 1-line block ×3, first 2 shown]
	v_fmamk_f16 v24, v21, 0x3aee, v42
	v_fmac_f16_e32 v42, 0xbaee, v21
	v_add_f16_e32 v21, v17, v52
	v_fmac_f16_e32 v17, -0.5, v13
	v_sub_f16_e32 v26, v50, v49
	v_add_f16_e32 v50, v50, v41
	v_fmac_f16_e32 v41, -0.5, v14
	v_sub_f16_e32 v51, v52, v53
	v_add_f16_e32 v13, v53, v21
	v_fmamk_f16 v14, v26, 0xbaee, v17
	v_fmac_f16_e32 v17, 0x3aee, v26
	v_add_f16_e32 v21, v49, v50
	v_fmamk_f16 v26, v51, 0x3aee, v41
	v_fmac_f16_e32 v41, 0xbaee, v51
	v_pack_b32_f16 v49, v9, v20
	v_pack_b32_f16 v50, v10, v27
	;; [unrolled: 1-line block ×6, first 2 shown]
	s_barrier
	buffer_gl0_inv
	ds_write2_b32 v44, v49, v50 offset1:8
	ds_write_b32 v44, v51 offset:64
	ds_write2_b32 v45, v52, v53 offset1:8
	ds_write_b32 v45, v54 offset:64
	s_and_saveexec_b32 s1, vcc_lo
	s_cbranch_execz .LBB0_13
; %bb.12:
	v_mul_u32_u24_e32 v43, 24, v43
	v_perm_b32 v44, v26, v14, 0x5040100
	v_or_b32_e32 v40, v43, v40
	v_perm_b32 v43, v21, v13, 0x5040100
	v_lshl_add_u32 v39, v40, 2, v39
	v_perm_b32 v40, v41, v17, 0x5040100
	ds_write2_b32 v39, v43, v44 offset1:8
	ds_write_b32 v39, v40 offset:64
.LBB0_13:
	s_or_b32 exec_lo, exec_lo, s1
	s_waitcnt lgkmcnt(0)
	s_barrier
	buffer_gl0_inv
	s_and_saveexec_b32 s1, s0
	s_cbranch_execz .LBB0_15
; %bb.14:
	ds_read2_b32 v[9:10], v33 offset1:24
	ds_read2_b32 v[11:12], v33 offset0:48 offset1:72
	ds_read2_b32 v[22:23], v33 offset0:96 offset1:120
	;; [unrolled: 1-line block ×4, first 2 shown]
	ds_read_b32 v46, v33 offset:960
	s_waitcnt lgkmcnt(5)
	v_lshrrev_b32_e32 v20, 16, v9
	v_lshrrev_b32_e32 v27, 16, v10
	s_waitcnt lgkmcnt(4)
	v_lshrrev_b32_e32 v48, 16, v11
	v_lshrrev_b32_e32 v25, 16, v12
	s_waitcnt lgkmcnt(3)
	v_lshrrev_b32_e32 v24, 16, v22
	v_lshrrev_b32_e32 v42, 16, v23
	s_waitcnt lgkmcnt(2)
	v_lshrrev_b32_e32 v21, 16, v13
	v_lshrrev_b32_e32 v26, 16, v14
	s_waitcnt lgkmcnt(1)
	v_lshrrev_b32_e32 v41, 16, v17
	v_lshrrev_b32_e32 v28, 16, v18
	s_waitcnt lgkmcnt(0)
	v_lshrrev_b32_e32 v47, 16, v46
.LBB0_15:
	s_or_b32 exec_lo, exec_lo, s1
	s_and_saveexec_b32 s1, s0
	s_cbranch_execz .LBB0_17
; %bb.16:
	v_mul_f16_sdwa v39, v4, v27 dst_sel:DWORD dst_unused:UNUSED_PAD src0_sel:WORD_1 src1_sel:DWORD
	v_mul_f16_sdwa v40, v16, v47 dst_sel:DWORD dst_unused:UNUSED_PAD src0_sel:WORD_1 src1_sel:DWORD
	;; [unrolled: 1-line block ×5, first 2 shown]
	v_fmac_f16_e32 v39, v4, v10
	v_fmac_f16_e32 v40, v16, v46
	v_mul_f16_sdwa v46, v15, v28 dst_sel:DWORD dst_unused:UNUSED_PAD src0_sel:WORD_1 src1_sel:DWORD
	v_fmac_f16_e32 v45, v5, v11
	v_mul_f16_sdwa v11, v5, v11 dst_sel:DWORD dst_unused:UNUSED_PAD src0_sel:WORD_1 src1_sel:DWORD
	v_fma_f16 v16, v16, v47, -v43
	v_fma_f16 v27, v4, v27, -v44
	v_sub_f16_e32 v10, v39, v40
	v_fmac_f16_e32 v46, v15, v18
	v_mul_f16_sdwa v18, v15, v18 dst_sel:DWORD dst_unused:UNUSED_PAD src0_sel:WORD_1 src1_sel:DWORD
	v_fma_f16 v5, v5, v48, -v11
	v_mul_f16_sdwa v47, v6, v25 dst_sel:DWORD dst_unused:UNUSED_PAD src0_sel:WORD_1 src1_sel:DWORD
	v_mul_f16_sdwa v48, v3, v41 dst_sel:DWORD dst_unused:UNUSED_PAD src0_sel:WORD_1 src1_sel:DWORD
	v_mul_f16_e32 v43, 0xba0c, v10
	v_add_f16_e32 v44, v16, v27
	v_sub_f16_e32 v4, v45, v46
	v_fma_f16 v15, v15, v28, -v18
	v_fmac_f16_e32 v47, v6, v12
	v_fmac_f16_e32 v48, v3, v17
	v_mul_f16_sdwa v17, v3, v17 dst_sel:DWORD dst_unused:UNUSED_PAD src0_sel:WORD_1 src1_sel:DWORD
	v_mul_f16_sdwa v12, v6, v12 dst_sel:DWORD dst_unused:UNUSED_PAD src0_sel:WORD_1 src1_sel:DWORD
	;; [unrolled: 1-line block ×4, first 2 shown]
	v_fmamk_f16 v11, v44, 0xb93d, v43
	v_mul_f16_e32 v18, 0x3beb, v4
	v_add_f16_e32 v28, v15, v5
	v_sub_f16_e32 v52, v47, v48
	v_fma_f16 v3, v3, v41, -v17
	v_fma_f16 v6, v6, v25, -v12
	v_fmac_f16_e32 v50, v7, v22
	v_fmac_f16_e32 v51, v2, v14
	v_mul_f16_sdwa v12, v2, v14 dst_sel:DWORD dst_unused:UNUSED_PAD src0_sel:WORD_1 src1_sel:DWORD
	v_mul_f16_sdwa v14, v7, v22 dst_sel:DWORD dst_unused:UNUSED_PAD src0_sel:WORD_1 src1_sel:DWORD
	v_add_f16_e32 v11, v20, v11
	v_fmamk_f16 v49, v28, 0xb08e, v18
	v_mul_f16_e32 v17, 0xb853, v52
	v_add_f16_e32 v22, v3, v6
	v_sub_f16_e32 v25, v50, v51
	v_fma_f16 v2, v2, v26, -v12
	v_fma_f16 v7, v7, v24, -v14
	v_add_f16_e32 v11, v49, v11
	v_fmamk_f16 v12, v22, 0x3abb, v17
	v_mul_f16_e32 v14, 0xb482, v25
	v_mul_f16_sdwa v26, v0, v42 dst_sel:DWORD dst_unused:UNUSED_PAD src0_sel:WORD_1 src1_sel:DWORD
	v_add_f16_e32 v24, v2, v7
	v_mul_f16_sdwa v41, v1, v21 dst_sel:DWORD dst_unused:UNUSED_PAD src0_sel:WORD_1 src1_sel:DWORD
	v_add_f16_e32 v11, v12, v11
	v_add_f16_e32 v49, v40, v39
	v_fmac_f16_e32 v26, v0, v23
	v_fmamk_f16 v12, v24, 0xbbad, v14
	v_fmac_f16_e32 v41, v1, v13
	v_mul_f16_sdwa v13, v1, v13 dst_sel:DWORD dst_unused:UNUSED_PAD src0_sel:WORD_1 src1_sel:DWORD
	v_mul_f16_sdwa v23, v0, v23 dst_sel:DWORD dst_unused:UNUSED_PAD src0_sel:WORD_1 src1_sel:DWORD
	v_sub_f16_e32 v55, v5, v15
	v_add_f16_e32 v11, v12, v11
	v_sub_f16_e32 v12, v27, v16
	v_sub_f16_e32 v54, v26, v41
	v_fma_f16 v1, v1, v21, -v13
	v_fma_f16 v0, v0, v42, -v23
	v_add_f16_e32 v21, v46, v45
	v_mul_f16_e32 v53, 0xba0c, v12
	v_mul_f16_e32 v23, 0x3beb, v55
	v_sub_f16_e32 v56, v6, v3
	v_mul_f16_e32 v42, 0x3b47, v54
	v_add_f16_e32 v57, v1, v0
	v_fma_f16 v13, v49, 0xb93d, -v53
	v_fma_f16 v58, v21, 0xb08e, -v23
	v_add_f16_e32 v59, v48, v47
	v_mul_f16_e32 v60, 0xb853, v56
	v_fmamk_f16 v61, v57, 0x36a6, v42
	v_add_f16_e32 v13, v9, v13
	v_add_f16_e32 v63, v51, v50
	v_mul_f16_e32 v66, 0x3853, v4
	v_fma_f16 v62, v59, 0x3abb, -v60
	v_add_f16_e32 v11, v61, v11
	v_add_f16_e32 v13, v58, v13
	v_sub_f16_e32 v58, v7, v2
	v_mul_f16_e32 v61, 0xb482, v10
	v_add_f16_e32 v68, v41, v26
	v_fmamk_f16 v70, v28, 0x3abb, v66
	v_add_f16_e32 v13, v62, v13
	v_mul_f16_e32 v64, 0xb482, v58
	v_sub_f16_e32 v62, v0, v1
	v_fmamk_f16 v65, v44, 0xbbad, v61
	v_mul_f16_e32 v71, 0xba0c, v52
	v_mul_f16_e32 v72, 0xb482, v12
	v_fma_f16 v67, v63, 0xbbad, -v64
	v_mul_f16_e32 v69, 0x3b47, v62
	v_add_f16_e32 v65, v20, v65
	v_mul_f16_e32 v73, 0x3b47, v25
	v_mul_f16_e32 v74, 0x3853, v55
	v_add_f16_e32 v13, v67, v13
	v_fma_f16 v67, v68, 0x36a6, -v69
	v_add_f16_e32 v65, v70, v65
	v_fmamk_f16 v70, v22, 0xb93d, v71
	v_mul_f16_e32 v75, 0xbbeb, v54
	v_fma_f16 v76, v21, 0x3abb, -v74
	v_add_f16_e32 v13, v67, v13
	v_fma_f16 v67, v49, 0xbbad, -v72
	v_add_f16_e32 v65, v70, v65
	v_fmamk_f16 v70, v24, 0x36a6, v73
	v_mul_f16_e32 v77, 0xba0c, v56
	v_fma_f16 v43, v44, 0xb93d, -v43
	v_add_f16_e32 v67, v9, v67
	v_fma_f16 v61, v44, 0xbbad, -v61
	v_add_f16_e32 v65, v70, v65
	v_fmamk_f16 v70, v57, 0xb08e, v75
	v_mul_f16_e32 v78, 0x3b47, v58
	v_add_f16_e32 v67, v76, v67
	v_fma_f16 v76, v59, 0xb93d, -v77
	v_add_f16_e32 v43, v20, v43
	v_fma_f16 v18, v28, 0xb08e, -v18
	v_add_f16_e32 v65, v70, v65
	v_add_f16_e32 v61, v20, v61
	v_fma_f16 v66, v28, 0x3abb, -v66
	v_add_f16_e32 v67, v76, v67
	v_fma_f16 v70, v63, 0x36a6, -v78
	v_mul_f16_e32 v76, 0xbbeb, v62
	v_fmac_f16_e32 v72, 0xbbad, v49
	v_fmac_f16_e32 v53, 0xb93d, v49
	v_add_f16_e32 v18, v18, v43
	v_fma_f16 v17, v22, 0x3abb, -v17
	v_add_f16_e32 v27, v27, v20
	v_add_f16_e32 v61, v66, v61
	v_fma_f16 v66, v22, 0xb93d, -v71
	v_add_f16_e32 v67, v70, v67
	v_fma_f16 v70, v68, 0xb08e, -v76
	v_add_f16_e32 v71, v9, v72
	v_fmac_f16_e32 v74, 0x3abb, v21
	v_add_f16_e32 v53, v9, v53
	v_fmac_f16_e32 v23, 0xb08e, v21
	v_add_f16_e32 v17, v17, v18
	v_fma_f16 v14, v24, 0xbbad, -v14
	v_add_f16_e32 v5, v5, v27
	v_add_f16_e32 v67, v70, v67
	;; [unrolled: 1-line block ×3, first 2 shown]
	v_fmac_f16_e32 v77, 0xb93d, v59
	v_add_f16_e32 v23, v23, v53
	v_fmac_f16_e32 v60, 0x3abb, v59
	v_add_f16_e32 v14, v14, v17
	v_fma_f16 v42, v57, 0x36a6, -v42
	v_add_f16_e32 v61, v66, v61
	v_fma_f16 v66, v24, 0x36a6, -v73
	v_mul_f16_e32 v18, 0xb08e, v44
	v_add_f16_e32 v5, v6, v5
	v_add_f16_e32 v70, v77, v70
	v_fmac_f16_e32 v78, 0x36a6, v63
	v_add_f16_e32 v23, v60, v23
	v_fmac_f16_e32 v64, 0xbbad, v63
	v_add_f16_e32 v14, v42, v14
	v_mul_f16_e32 v42, 0xbbeb, v12
	v_add_f16_e32 v61, v66, v61
	v_fma_f16 v66, v57, 0xb08e, -v75
	v_fmamk_f16 v17, v10, 0x3beb, v18
	v_mul_f16_e32 v53, 0xbbad, v28
	v_add_f16_e32 v5, v7, v5
	v_add_f16_e32 v43, v78, v70
	;; [unrolled: 1-line block ×3, first 2 shown]
	v_fmac_f16_e32 v69, 0x36a6, v68
	v_fmamk_f16 v70, v49, 0xb08e, v42
	v_mul_f16_e32 v71, 0x3482, v55
	v_add_f16_e32 v61, v66, v61
	v_add_f16_e32 v17, v20, v17
	v_fmamk_f16 v60, v4, 0xb482, v53
	v_mul_f16_e32 v66, 0x36a6, v22
	v_add_f16_e32 v0, v0, v5
	v_add_f16_e32 v23, v69, v23
	;; [unrolled: 1-line block ×3, first 2 shown]
	v_fmamk_f16 v70, v21, 0xbbad, v71
	v_mul_f16_e32 v72, 0x3b47, v56
	v_add_f16_e32 v17, v60, v17
	v_fmamk_f16 v60, v52, 0xbb47, v66
	v_mul_f16_e32 v64, 0x3abb, v24
	v_add_f16_e32 v0, v1, v0
	v_add_f16_e32 v69, v70, v69
	v_fmamk_f16 v70, v59, 0x36a6, v72
	v_mul_f16_e32 v74, 0xb853, v58
	v_add_f16_e32 v39, v9, v39
	v_add_f16_e32 v17, v60, v17
	v_fmamk_f16 v60, v25, 0x3853, v64
	v_add_f16_e32 v0, v2, v0
	v_fmac_f16_e32 v18, 0xbbeb, v10
	v_fma_f16 v2, v49, 0xb08e, -v42
	v_add_f16_e32 v69, v70, v69
	v_fmamk_f16 v70, v63, 0x3abb, v74
	v_add_f16_e32 v39, v45, v39
	v_fmac_f16_e32 v76, 0xb08e, v68
	v_add_f16_e32 v17, v60, v17
	v_mul_f16_e32 v60, 0xb93d, v57
	v_mul_f16_e32 v73, 0x36a6, v44
	v_add_f16_e32 v0, v3, v0
	v_add_f16_e32 v3, v20, v18
	;; [unrolled: 1-line block ×3, first 2 shown]
	v_fma_f16 v18, v21, 0xbbad, -v71
	v_add_f16_e32 v69, v70, v69
	v_mul_f16_e32 v70, 0xba0c, v62
	v_mul_f16_e32 v79, 0xbb47, v12
	v_add_f16_e32 v39, v47, v39
	v_add_f16_e32 v43, v76, v43
	v_fmamk_f16 v75, v54, 0x3a0c, v60
	v_fmamk_f16 v76, v10, 0x3b47, v73
	v_mul_f16_e32 v77, 0xb93d, v28
	v_add_f16_e32 v0, v15, v0
	v_fmac_f16_e32 v73, 0xbb47, v10
	v_add_f16_e32 v2, v18, v2
	v_fma_f16 v15, v59, 0x36a6, -v72
	v_fmamk_f16 v81, v68, 0xb93d, v70
	v_fmamk_f16 v82, v49, 0x36a6, v79
	v_mul_f16_e32 v83, 0xba0c, v55
	v_mul_f16_e32 v12, 0xb853, v12
	v_add_f16_e32 v39, v50, v39
	v_add_f16_e32 v17, v75, v17
	;; [unrolled: 1-line block ×3, first 2 shown]
	v_fmamk_f16 v76, v4, 0x3a0c, v77
	v_mul_f16_e32 v78, 0xbbad, v22
	v_add_f16_e32 v18, v20, v73
	v_fmac_f16_e32 v77, 0xba0c, v4
	v_add_f16_e32 v2, v15, v2
	v_fma_f16 v15, v63, 0x3abb, -v74
	v_add_f16_e32 v69, v81, v69
	v_add_f16_e32 v81, v9, v82
	v_fmamk_f16 v82, v21, 0xb93d, v83
	v_mul_f16_e32 v84, 0x3482, v56
	v_mul_f16_e32 v44, 0x3abb, v44
	v_fmamk_f16 v47, v49, 0x3abb, v12
	v_mul_f16_e32 v55, 0xbb47, v55
	v_add_f16_e32 v26, v26, v39
	v_add_f16_e32 v75, v76, v75
	v_fmamk_f16 v76, v52, 0xb482, v78
	v_mul_f16_e32 v80, 0xb08e, v24
	v_add_f16_e32 v18, v77, v18
	v_fmac_f16_e32 v78, 0x3482, v52
	v_add_f16_e32 v2, v15, v2
	v_fma_f16 v15, v68, 0xb93d, -v70
	v_add_f16_e32 v81, v82, v81
	v_fmamk_f16 v82, v59, 0xbbad, v84
	v_mul_f16_e32 v85, 0x3beb, v58
	v_fmamk_f16 v87, v10, 0x3853, v44
	v_mul_f16_e32 v28, 0x36a6, v28
	v_add_f16_e32 v27, v9, v47
	v_fmamk_f16 v47, v21, 0x36a6, v55
	v_mul_f16_e32 v50, 0xbbeb, v56
	v_add_f16_e32 v26, v41, v26
	v_add_f16_e32 v75, v76, v75
	v_fmamk_f16 v76, v25, 0xbbeb, v80
	v_add_f16_e32 v18, v78, v18
	v_fmac_f16_e32 v80, 0x3beb, v25
	v_add_f16_e32 v2, v15, v2
	v_fma_f16 v15, v49, 0x36a6, -v79
	v_fmac_f16_e32 v44, 0xb853, v10
	v_fma_f16 v10, v49, 0x3abb, -v12
	v_add_f16_e32 v81, v82, v81
	v_fmamk_f16 v82, v63, 0xb08e, v85
	v_mul_f16_e32 v88, 0x3853, v62
	v_add_f16_e32 v87, v20, v87
	v_fmamk_f16 v89, v4, 0x3b47, v28
	v_mul_f16_e32 v22, 0xb08e, v22
	v_add_f16_e32 v27, v47, v27
	v_fmamk_f16 v39, v59, 0xb08e, v50
	v_mul_f16_e32 v7, 0xba0c, v58
	v_add_f16_e32 v26, v51, v26
	v_fmac_f16_e32 v53, 0x3482, v4
	v_add_f16_e32 v0, v16, v0
	v_add_f16_e32 v16, v80, v18
	;; [unrolled: 1-line block ×3, first 2 shown]
	v_fma_f16 v15, v21, 0xb93d, -v83
	v_add_f16_e32 v18, v20, v44
	v_fmac_f16_e32 v28, 0xbb47, v4
	v_add_f16_e32 v4, v9, v10
	v_fma_f16 v9, v21, 0x36a6, -v55
	v_add_f16_e32 v81, v82, v81
	v_fmamk_f16 v82, v68, 0x3abb, v88
	v_add_f16_e32 v87, v89, v87
	v_fmamk_f16 v89, v52, 0x3beb, v22
	v_mul_f16_e32 v24, 0xb93d, v24
	v_add_f16_e32 v27, v39, v27
	v_fmamk_f16 v5, v63, 0xb93d, v7
	v_mul_f16_e32 v39, 0xb482, v62
	v_add_f16_e32 v26, v48, v26
	v_add_f16_e32 v3, v53, v3
	v_fmac_f16_e32 v66, 0x3b47, v52
	v_add_f16_e32 v10, v15, v12
	v_fma_f16 v12, v59, 0xbbad, -v84
	v_add_f16_e32 v15, v28, v18
	v_fmac_f16_e32 v22, 0xbbeb, v52
	v_add_f16_e32 v4, v9, v4
	v_fma_f16 v9, v59, 0xb08e, -v50
	v_add_f16_e32 v75, v76, v75
	v_mul_f16_e32 v76, 0x3abb, v57
	v_add_f16_e32 v45, v82, v81
	v_add_f16_e32 v81, v89, v87
	v_fmamk_f16 v82, v25, 0x3a0c, v24
	v_mul_f16_e32 v41, 0xbbad, v57
	v_add_f16_e32 v1, v5, v27
	v_fmamk_f16 v5, v68, 0xbbad, v39
	v_add_f16_e32 v26, v46, v26
	v_add_f16_e32 v3, v66, v3
	v_fmac_f16_e32 v64, 0xb853, v25
	v_add_f16_e32 v10, v12, v10
	v_fma_f16 v12, v63, 0xb08e, -v85
	v_add_f16_e32 v15, v22, v15
	v_fmac_f16_e32 v24, 0xba0c, v25
	v_add_f16_e32 v4, v9, v4
	v_fma_f16 v7, v63, 0xb93d, -v7
	v_fmamk_f16 v86, v54, 0xb853, v76
	v_add_f16_e32 v6, v82, v81
	v_fmamk_f16 v47, v54, 0x3482, v41
	v_add_f16_e32 v1, v5, v1
	v_add_f16_e32 v5, v40, v26
	;; [unrolled: 1-line block ×3, first 2 shown]
	v_fmac_f16_e32 v60, 0xba0c, v54
	v_fmac_f16_e32 v76, 0x3853, v54
	v_add_f16_e32 v9, v12, v10
	v_fma_f16 v10, v68, 0x3abb, -v88
	v_add_f16_e32 v12, v24, v15
	v_fmac_f16_e32 v41, 0xb482, v54
	v_add_f16_e32 v4, v7, v4
	v_fma_f16 v7, v68, 0xbbad, -v39
	v_add_f16_e32 v75, v86, v75
	v_add_f16_e32 v6, v47, v6
	v_pack_b32_f16 v0, v5, v0
	v_add_f16_e32 v3, v60, v3
	v_add_f16_e32 v5, v76, v16
	;; [unrolled: 1-line block ×5, first 2 shown]
	ds_write_b32 v33, v0
	v_pack_b32_f16 v0, v1, v6
	v_pack_b32_f16 v1, v45, v75
	v_pack_b32_f16 v6, v69, v17
	v_pack_b32_f16 v7, v23, v14
	v_pack_b32_f16 v12, v43, v61
	v_pack_b32_f16 v14, v67, v65
	v_pack_b32_f16 v11, v13, v11
	v_pack_b32_f16 v2, v2, v3
	v_pack_b32_f16 v3, v9, v5
	v_pack_b32_f16 v4, v4, v10
	ds_write2_b32 v19, v0, v1 offset0:24 offset1:48
	ds_write2_b32 v19, v6, v7 offset0:72 offset1:96
	;; [unrolled: 1-line block ×5, first 2 shown]
.LBB0_17:
	s_or_b32 exec_lo, exec_lo, s1
	s_waitcnt lgkmcnt(0)
	s_barrier
	buffer_gl0_inv
	ds_read2_b32 v[0:1], v33 offset1:33
	s_mov_b32 s4, 0xf07c1f08
	s_mov_b32 s5, 0x3f6f07c1
	ds_read_b32 v17, v19 offset:264
	s_waitcnt lgkmcnt(1)
	v_lshrrev_b32_e32 v2, 16, v0
	v_mul_f16_sdwa v3, v38, v0 dst_sel:DWORD dst_unused:UNUSED_PAD src0_sel:WORD_1 src1_sel:DWORD
	v_lshrrev_b32_e32 v4, 16, v1
	v_mul_f16_sdwa v5, v37, v1 dst_sel:DWORD dst_unused:UNUSED_PAD src0_sel:WORD_1 src1_sel:DWORD
	v_mul_f16_sdwa v6, v38, v2 dst_sel:DWORD dst_unused:UNUSED_PAD src0_sel:WORD_1 src1_sel:DWORD
	v_fma_f16 v2, v38, v2, -v3
	v_mul_f16_sdwa v13, v37, v4 dst_sel:DWORD dst_unused:UNUSED_PAD src0_sel:WORD_1 src1_sel:DWORD
	v_fma_f16 v5, v37, v4, -v5
	v_fmac_f16_e32 v6, v38, v0
	v_cvt_f32_f16_e32 v0, v2
	v_mad_u64_u32 v[2:3], null, s10, v8, 0
	v_cvt_f32_f16_e32 v9, v5
	v_cvt_f32_f16_e32 v11, v6
	v_cvt_f64_f32_e32 v[4:5], v0
	v_mad_u64_u32 v[6:7], null, s8, v36, 0
	v_cvt_f64_f32_e32 v[9:10], v9
	v_fmac_f16_e32 v13, v37, v1
	v_cvt_f64_f32_e32 v[11:12], v11
	v_mov_b32_e32 v0, v3
	v_cvt_f32_f16_e32 v3, v13
	v_mov_b32_e32 v1, v7
	v_cvt_f64_f32_e32 v[13:14], v3
	v_mad_u64_u32 v[7:8], null, s11, v8, v[0:1]
	ds_read_b32 v0, v33 offset:924
	v_mad_u64_u32 v[15:16], null, s9, v36, v[1:2]
	s_waitcnt lgkmcnt(1)
	v_lshrrev_b32_e32 v16, 16, v17
	v_mul_f16_sdwa v18, v35, v17 dst_sel:DWORD dst_unused:UNUSED_PAD src0_sel:WORD_1 src1_sel:DWORD
	v_mul_f64 v[4:5], v[4:5], s[4:5]
	v_mov_b32_e32 v3, v7
	v_mul_f64 v[8:9], v[9:10], s[4:5]
	v_mov_b32_e32 v7, v15
	v_mul_f64 v[10:11], v[11:12], s[4:5]
	v_lshlrev_b64 v[1:2], 2, v[2:3]
	v_mul_f16_sdwa v15, v35, v16 dst_sel:DWORD dst_unused:UNUSED_PAD src0_sel:WORD_1 src1_sel:DWORD
	v_fma_f16 v16, v35, v16, -v18
	v_lshlrev_b64 v[6:7], 2, v[6:7]
	v_add_co_u32 v3, vcc_lo, s2, v1
	v_add_co_ci_u32_e32 v12, vcc_lo, s3, v2, vcc_lo
	v_mul_f64 v[1:2], v[13:14], s[4:5]
	v_add_co_u32 v6, vcc_lo, v3, v6
	v_add_co_ci_u32_e32 v7, vcc_lo, v12, v7, vcc_lo
	v_fmac_f16_e32 v15, v35, v17
	v_and_or_b32 v3, 0x1ff, v5, v4
	v_lshrrev_b32_e32 v4, 8, v5
	v_bfe_u32 v14, v5, 20, 11
	v_and_or_b32 v8, 0x1ff, v9, v8
	v_bfe_u32 v17, v9, 20, 11
	v_cmp_ne_u32_e32 vcc_lo, 0, v3
	v_and_or_b32 v10, 0x1ff, v11, v10
	v_lshrrev_b32_e32 v18, 8, v11
	v_bfe_u32 v19, v11, 20, 11
	v_cvt_f32_f16_e32 v13, v15
	v_cndmask_b32_e64 v3, 0, 1, vcc_lo
	v_cmp_ne_u32_e32 vcc_lo, 0, v8
	v_lshrrev_b32_e32 v15, 8, v9
	v_sub_nc_u32_e32 v24, 0x3f1, v19
	v_sub_nc_u32_e32 v20, 0x3f1, v14
	;; [unrolled: 1-line block ×3, first 2 shown]
	v_cndmask_b32_e64 v8, 0, 1, vcc_lo
	v_cmp_ne_u32_e32 vcc_lo, 0, v10
	v_and_or_b32 v1, 0x1ff, v2, v1
	v_lshrrev_b32_e32 v21, 8, v2
	v_and_or_b32 v3, 0xffe, v4, v3
	v_add_nc_u32_e32 v14, 0xfffffc10, v14
	v_cndmask_b32_e64 v10, 0, 1, vcc_lo
	v_cmp_ne_u32_e32 vcc_lo, 0, v1
	v_med3_i32 v4, v20, 0, 13
	v_and_or_b32 v8, 0xffe, v15, v8
	v_med3_i32 v15, v23, 0, 13
	v_and_or_b32 v10, 0xffe, v18, v10
	v_cndmask_b32_e64 v1, 0, 1, vcc_lo
	v_med3_i32 v18, v24, 0, 13
	v_or_b32_e32 v23, 0x1000, v3
	v_cmp_ne_u32_e32 vcc_lo, 0, v3
	v_or_b32_e32 v24, 0x1000, v10
	v_and_or_b32 v1, 0xffe, v21, v1
	v_add_nc_u32_e32 v19, 0xfffffc10, v19
	v_lshl_or_b32 v25, v14, 12, v3
	v_cndmask_b32_e64 v3, 0, 1, vcc_lo
	v_lshrrev_b32_e32 v21, v18, v24
	v_lshrrev_b32_e32 v26, v4, v23
	v_cmp_ne_u32_e32 vcc_lo, 0, v10
	v_bfe_u32 v22, v2, 20, 11
	v_lshl_or_b32 v28, v19, 12, v10
	v_lshlrev_b32_e32 v18, v18, v21
	v_lshlrev_b32_e32 v4, v4, v26
	v_cndmask_b32_e64 v10, 0, 1, vcc_lo
	v_sub_nc_u32_e32 v20, 0x3f1, v22
	v_cvt_f64_f32_e32 v[12:13], v13
	v_cmp_ne_u32_e32 vcc_lo, v18, v24
	v_add_nc_u32_e32 v22, 0xfffffc10, v22
	v_or_b32_e32 v27, 0x1000, v8
	v_med3_i32 v20, v20, 0, 13
	v_lshl_or_b32 v10, v10, 9, 0x7c00
	v_cndmask_b32_e64 v18, 0, 1, vcc_lo
	v_cmp_ne_u32_e32 vcc_lo, v4, v23
	v_or_b32_e32 v23, 0x1000, v1
	v_lshl_or_b32 v24, v22, 12, v1
	v_lshl_or_b32 v3, v3, 9, 0x7c00
	v_or_b32_e32 v18, v21, v18
	v_cndmask_b32_e64 v4, 0, 1, vcc_lo
	v_cmp_gt_i32_e32 vcc_lo, 1, v19
	v_lshrrev_b32_e32 v21, v15, v27
	v_lshrrev_b32_e32 v11, 16, v11
	;; [unrolled: 1-line block ×3, first 2 shown]
	v_or_b32_e32 v4, v26, v4
	v_lshrrev_b32_e32 v26, v20, v23
	v_cndmask_b32_e32 v18, v28, v18, vcc_lo
	v_cmp_gt_i32_e32 vcc_lo, 1, v14
	v_lshlrev_b32_e32 v15, v15, v21
	v_lshrrev_b32_e32 v2, 16, v2
	v_lshlrev_b32_e32 v20, v20, v26
	v_lshrrev_b32_e32 v9, 16, v9
	v_cndmask_b32_e32 v4, v25, v4, vcc_lo
	v_and_b32_e32 v25, 7, v18
	v_lshrrev_b32_e32 v18, 2, v18
	v_cmp_ne_u32_e32 vcc_lo, v20, v23
	s_mul_i32 s3, s8, 0x84
	v_and_b32_e32 v28, 7, v4
	v_cmp_eq_u32_e64 s0, 3, v25
	v_lshrrev_b32_e32 v4, 2, v4
	v_cndmask_b32_e64 v20, 0, 1, vcc_lo
	v_cmp_lt_i32_e32 vcc_lo, 5, v25
	v_cmp_lt_i32_e64 s1, 5, v28
	v_cmp_eq_u32_e64 s2, 3, v28
	v_or_b32_e32 v20, v26, v20
	s_or_b32 vcc_lo, s0, vcc_lo
	v_add_co_ci_u32_e32 v18, vcc_lo, 0, v18, vcc_lo
	s_or_b32 vcc_lo, s2, s1
	s_mul_hi_u32 s2, s8, 0x84
	v_add_co_ci_u32_e32 v4, vcc_lo, 0, v4, vcc_lo
	v_cmp_gt_i32_e32 vcc_lo, 31, v19
	v_cndmask_b32_e32 v18, 0x7c00, v18, vcc_lo
	v_cmp_gt_i32_e32 vcc_lo, 31, v14
	v_cndmask_b32_e32 v4, 0x7c00, v4, vcc_lo
	v_cmp_eq_u32_e32 vcc_lo, 0x40f, v19
	v_cndmask_b32_e32 v10, v18, v10, vcc_lo
	v_cmp_gt_i32_e32 vcc_lo, 1, v22
	v_cndmask_b32_e32 v18, v24, v20, vcc_lo
	v_cmp_eq_u32_e32 vcc_lo, 0x40f, v14
	v_cndmask_b32_e32 v3, v4, v3, vcc_lo
	v_cmp_ne_u32_e32 vcc_lo, v15, v27
	v_and_or_b32 v4, 0x8000, v11, v10
	v_and_b32_e32 v11, 7, v18
	v_add_nc_u32_e32 v15, 0xfffffc10, v17
	v_and_or_b32 v5, 0x8000, v5, v3
	v_cndmask_b32_e64 v10, 0, 1, vcc_lo
	v_and_b32_e32 v14, 0xffff, v4
	v_mul_f64 v[3:4], v[12:13], s[4:5]
	v_cmp_lt_i32_e32 vcc_lo, 5, v11
	v_cmp_eq_u32_e64 s0, 3, v11
	v_or_b32_e32 v10, v21, v10
	v_lshl_or_b32 v12, v15, 12, v8
	v_lshrrev_b32_e32 v11, 2, v18
	v_cmp_gt_i32_e64 s1, 1, v15
	s_or_b32 vcc_lo, s0, vcc_lo
	v_lshl_or_b32 v5, v5, 16, v14
	v_cvt_f32_f16_e32 v13, v16
	v_cndmask_b32_e64 v14, v12, v10, s1
	v_add_co_ci_u32_e32 v12, vcc_lo, 0, v11, vcc_lo
	v_cmp_ne_u32_e32 vcc_lo, 0, v1
	v_cvt_f64_f32_e32 v[10:11], v13
	v_and_b32_e32 v16, 7, v14
	v_lshrrev_b32_e32 v14, 2, v14
	v_cmp_eq_u32_e64 s1, 0x40f, v22
	v_cndmask_b32_e64 v1, 0, 1, vcc_lo
	v_cmp_gt_i32_e32 vcc_lo, 31, v22
	v_cmp_eq_u32_e64 s0, 3, v16
	v_and_or_b32 v3, 0x1ff, v4, v3
	global_store_dword v[6:7], v5, off
	v_lshl_or_b32 v1, v1, 9, 0x7c00
	v_cndmask_b32_e32 v17, 0x7c00, v12, vcc_lo
	v_cmp_lt_i32_e32 vcc_lo, 5, v16
	ds_read2_b32 v[12:13], v33 offset0:99 offset1:132
	v_lshrrev_b32_e32 v16, 8, v4
	v_cndmask_b32_e64 v1, v17, v1, s1
	s_or_b32 vcc_lo, s0, vcc_lo
	v_bfe_u32 v17, v4, 20, 11
	v_add_co_ci_u32_e32 v14, vcc_lo, 0, v14, vcc_lo
	v_cmp_ne_u32_e32 vcc_lo, 0, v3
	v_and_or_b32 v1, 0x8000, v2, v1
	v_mul_f64 v[10:11], v[10:11], s[4:5]
	s_mul_i32 s0, s9, 0x84
	v_cndmask_b32_e64 v3, 0, 1, vcc_lo
	v_cmp_ne_u32_e32 vcc_lo, 0, v8
	s_add_i32 s2, s2, s0
	v_and_or_b32 v3, 0xffe, v16, v3
	v_cndmask_b32_e64 v8, 0, 1, vcc_lo
	v_sub_nc_u32_e32 v16, 0x3f1, v17
	v_cmp_gt_i32_e32 vcc_lo, 31, v15
	s_waitcnt lgkmcnt(0)
	v_lshrrev_b32_e32 v18, 16, v12
	v_or_b32_e32 v19, 0x1000, v3
	v_lshl_or_b32 v8, v8, 9, 0x7c00
	v_med3_i32 v16, v16, 0, 13
	v_cndmask_b32_e32 v14, 0x7c00, v14, vcc_lo
	v_cmp_eq_u32_e32 vcc_lo, 0x40f, v15
	v_mul_f16_sdwa v20, v34, v18 dst_sel:DWORD dst_unused:UNUSED_PAD src0_sel:WORD_1 src1_sel:DWORD
	v_add_nc_u32_e32 v15, 0xfffffc10, v17
	v_cndmask_b32_e32 v8, v14, v8, vcc_lo
	v_lshrrev_b32_e32 v14, v16, v19
	v_fmac_f16_e32 v20, v34, v12
	v_and_or_b32 v10, 0x1ff, v11, v10
	v_bfe_u32 v17, v11, 20, 11
	v_and_or_b32 v8, 0x8000, v9, v8
	v_lshlrev_b32_e32 v5, v16, v14
	v_cvt_f32_f16_e32 v2, v20
	v_and_b32_e32 v9, 0xffff, v1
	v_lshrrev_b32_e32 v16, 8, v11
	v_mul_f16_sdwa v12, v34, v12 dst_sel:DWORD dst_unused:UNUSED_PAD src0_sel:WORD_1 src1_sel:DWORD
	v_cmp_ne_u32_e32 vcc_lo, v5, v19
	v_cvt_f64_f32_e32 v[1:2], v2
	v_lshl_or_b32 v9, v8, 16, v9
	v_lshrrev_b32_e32 v11, 16, v11
	v_fma_f16 v12, v34, v18, -v12
	v_cndmask_b32_e64 v5, 0, 1, vcc_lo
	v_cmp_ne_u32_e32 vcc_lo, 0, v10
	v_or_b32_e32 v5, v14, v5
	v_cndmask_b32_e64 v10, 0, 1, vcc_lo
	v_lshl_or_b32 v14, v15, 12, v3
	v_cmp_gt_i32_e32 vcc_lo, 1, v15
	v_and_or_b32 v10, 0xffe, v16, v10
	v_sub_nc_u32_e32 v16, 0x3f1, v17
	v_cndmask_b32_e32 v14, v14, v5, vcc_lo
	v_add_co_u32 v5, vcc_lo, v6, s3
	v_or_b32_e32 v19, 0x1000, v10
	v_med3_i32 v16, v16, 0, 13
	v_and_b32_e32 v8, 7, v14
	v_mul_f64 v[1:2], v[1:2], s[4:5]
	v_add_co_ci_u32_e32 v6, vcc_lo, s2, v7, vcc_lo
	v_lshrrev_b32_e32 v20, v16, v19
	v_cmp_lt_i32_e32 vcc_lo, 5, v8
	v_cmp_eq_u32_e64 s0, 3, v8
	v_lshrrev_b32_e32 v8, 2, v14
	v_add_nc_u32_e32 v14, 0xfffffc10, v17
	v_lshlrev_b32_e32 v7, v16, v20
	global_store_dword v[5:6], v9, off
	s_or_b32 vcc_lo, s0, vcc_lo
	v_add_co_ci_u32_e32 v16, vcc_lo, 0, v8, vcc_lo
	v_cmp_ne_u32_e64 s1, v7, v19
	v_cmp_ne_u32_e32 vcc_lo, 0, v3
	v_cvt_f32_f16_e32 v8, v12
	v_lshl_or_b32 v17, v14, 12, v10
	v_cndmask_b32_e64 v7, 0, 1, s1
	v_cndmask_b32_e64 v3, 0, 1, vcc_lo
	v_cmp_gt_i32_e32 vcc_lo, 1, v14
	v_and_or_b32 v1, 0x1ff, v2, v1
	v_bfe_u32 v19, v2, 20, 11
	v_or_b32_e32 v12, v20, v7
	v_cvt_f64_f32_e32 v[7:8], v8
	v_lshl_or_b32 v3, v3, 9, 0x7c00
	v_lshrrev_b32_e32 v18, 8, v2
	v_lshrrev_b32_e32 v20, 16, v13
	v_cndmask_b32_e32 v12, v17, v12, vcc_lo
	v_cmp_gt_i32_e32 vcc_lo, 31, v15
	v_and_b32_e32 v17, 7, v12
	v_cndmask_b32_e32 v16, 0x7c00, v16, vcc_lo
	v_cmp_ne_u32_e32 vcc_lo, 0, v1
	v_lshrrev_b32_e32 v12, 2, v12
	v_cmp_eq_u32_e64 s0, 3, v17
	v_cndmask_b32_e64 v1, 0, 1, vcc_lo
	v_cmp_eq_u32_e32 vcc_lo, 0x40f, v15
	v_and_or_b32 v1, 0xffe, v18, v1
	v_cndmask_b32_e32 v15, v16, v3, vcc_lo
	v_sub_nc_u32_e32 v3, 0x3f1, v19
	v_cmp_lt_i32_e32 vcc_lo, 5, v17
	v_lshrrev_b32_e32 v16, 16, v4
	v_or_b32_e32 v17, 0x1000, v1
	v_med3_i32 v18, v3, 0, 13
	v_mul_f64 v[3:4], v[7:8], s[4:5]
	s_or_b32 vcc_lo, s0, vcc_lo
	v_and_or_b32 v15, 0x8000, v16, v15
	v_add_co_ci_u32_e32 v7, vcc_lo, 0, v12, vcc_lo
	v_cmp_ne_u32_e32 vcc_lo, 0, v10
	v_lshrrev_b32_e32 v10, v18, v17
	v_mul_f16_sdwa v12, v32, v20 dst_sel:DWORD dst_unused:UNUSED_PAD src0_sel:WORD_1 src1_sel:DWORD
	v_and_b32_e32 v15, 0xffff, v15
	v_cndmask_b32_e64 v8, 0, 1, vcc_lo
	v_cmp_gt_i32_e32 vcc_lo, 31, v14
	v_lshlrev_b32_e32 v16, v18, v10
	v_fmac_f16_e32 v12, v32, v13
	v_mul_f16_sdwa v13, v32, v13 dst_sel:DWORD dst_unused:UNUSED_PAD src0_sel:WORD_1 src1_sel:DWORD
	v_lshl_or_b32 v8, v8, 9, 0x7c00
	v_cndmask_b32_e32 v7, 0x7c00, v7, vcc_lo
	v_cmp_eq_u32_e32 vcc_lo, 0x40f, v14
	v_cndmask_b32_e32 v14, v7, v8, vcc_lo
	v_cmp_ne_u32_e32 vcc_lo, v16, v17
	v_and_or_b32 v3, 0x1ff, v4, v3
	v_cvt_f32_f16_e32 v7, v12
	v_add_nc_u32_e32 v16, 0xfffffc10, v19
	v_and_or_b32 v11, 0x8000, v11, v14
	v_cndmask_b32_e64 v12, 0, 1, vcc_lo
	v_cmp_ne_u32_e32 vcc_lo, 0, v3
	v_cvt_f64_f32_e32 v[7:8], v7
	v_lshrrev_b32_e32 v14, 8, v4
	v_bfe_u32 v17, v4, 20, 11
	v_or_b32_e32 v10, v10, v12
	v_lshl_or_b32 v12, v16, 12, v1
	v_cndmask_b32_e64 v3, 0, 1, vcc_lo
	v_cmp_gt_i32_e32 vcc_lo, 1, v16
	v_lshl_or_b32 v9, v11, 16, v15
	v_lshrrev_b32_e32 v4, 16, v4
	v_and_or_b32 v3, 0xffe, v14, v3
	v_cndmask_b32_e32 v10, v12, v10, vcc_lo
	v_sub_nc_u32_e32 v12, 0x3f1, v17
	v_add_co_u32 v5, vcc_lo, v5, s3
	v_or_b32_e32 v14, 0x1000, v3
	v_and_b32_e32 v11, 7, v10
	v_med3_i32 v12, v12, 0, 13
	v_add_co_ci_u32_e32 v6, vcc_lo, s2, v6, vcc_lo
	v_add_nc_u32_e32 v17, 0xfffffc10, v17
	v_cmp_lt_i32_e32 vcc_lo, 5, v11
	v_lshrrev_b32_e32 v15, v12, v14
	v_cmp_eq_u32_e64 s0, 3, v11
	v_mul_f64 v[7:8], v[7:8], s[4:5]
	global_store_dword v[5:6], v9, off
	v_lshrrev_b32_e32 v9, 2, v10
	v_lshlrev_b32_e32 v10, v12, v15
	s_or_b32 vcc_lo, s0, vcc_lo
	v_fma_f16 v11, v32, v20, -v13
	v_add_co_u32 v5, s1, v5, s3
	v_add_co_ci_u32_e32 v13, vcc_lo, 0, v9, vcc_lo
	v_cmp_ne_u32_e32 vcc_lo, v10, v14
	v_cvt_f32_f16_e32 v11, v11
	ds_read2_b32 v[9:10], v33 offset0:165 offset1:198
	v_add_co_ci_u32_e64 v6, s1, s2, v6, s1
	v_cndmask_b32_e64 v14, 0, 1, vcc_lo
	v_cmp_ne_u32_e32 vcc_lo, 0, v1
	v_cvt_f64_f32_e32 v[11:12], v11
	v_or_b32_e32 v14, v15, v14
	v_cndmask_b32_e64 v1, 0, 1, vcc_lo
	v_cmp_gt_i32_e32 vcc_lo, 31, v16
	v_lshl_or_b32 v15, v17, 12, v3
	v_and_or_b32 v7, 0x1ff, v8, v7
	v_bfe_u32 v18, v8, 20, 11
	v_lshl_or_b32 v1, v1, 9, 0x7c00
	v_cndmask_b32_e32 v13, 0x7c00, v13, vcc_lo
	v_cmp_gt_i32_e32 vcc_lo, 1, v17
	v_sub_nc_u32_e32 v19, 0x3f1, v18
	v_add_nc_u32_e32 v18, 0xfffffc10, v18
	s_waitcnt lgkmcnt(0)
	v_lshrrev_b32_e32 v20, 16, v9
	v_cndmask_b32_e32 v14, v15, v14, vcc_lo
	v_cmp_ne_u32_e32 vcc_lo, 0, v7
	v_lshrrev_b32_e32 v15, 8, v8
	v_lshrrev_b32_e32 v8, 16, v8
	v_cndmask_b32_e64 v7, 0, 1, vcc_lo
	v_cmp_eq_u32_e32 vcc_lo, 0x40f, v16
	v_and_b32_e32 v16, 7, v14
	v_lshrrev_b32_e32 v14, 2, v14
	v_and_or_b32 v7, 0xffe, v15, v7
	v_cndmask_b32_e32 v13, v13, v1, vcc_lo
	v_cmp_lt_i32_e32 vcc_lo, 5, v16
	v_cmp_eq_u32_e64 s0, 3, v16
	v_lshrrev_b32_e32 v15, 16, v2
	v_mul_f64 v[1:2], v[11:12], s[4:5]
	v_or_b32_e32 v21, 0x1000, v7
	v_med3_i32 v11, v19, 0, 13
	v_mul_f16_sdwa v12, v31, v20 dst_sel:DWORD dst_unused:UNUSED_PAD src0_sel:WORD_1 src1_sel:DWORD
	s_or_b32 vcc_lo, s0, vcc_lo
	v_and_or_b32 v13, 0x8000, v15, v13
	v_add_co_ci_u32_e32 v14, vcc_lo, 0, v14, vcc_lo
	v_lshrrev_b32_e32 v15, v11, v21
	v_cmp_ne_u32_e32 vcc_lo, 0, v3
	v_fmac_f16_e32 v12, v31, v9
	v_and_b32_e32 v13, 0xffff, v13
	v_mul_f16_sdwa v9, v31, v9 dst_sel:DWORD dst_unused:UNUSED_PAD src0_sel:WORD_1 src1_sel:DWORD
	v_lshlrev_b32_e32 v16, v11, v15
	v_cndmask_b32_e64 v3, 0, 1, vcc_lo
	v_cmp_gt_i32_e32 vcc_lo, 31, v17
	v_cvt_f32_f16_e32 v12, v12
	v_fma_f16 v9, v31, v20, -v9
	v_lshl_or_b32 v3, v3, 9, 0x7c00
	v_cndmask_b32_e32 v14, 0x7c00, v14, vcc_lo
	v_cmp_ne_u32_e32 vcc_lo, v16, v21
	v_cvt_f64_f32_e32 v[11:12], v12
	v_and_or_b32 v1, 0x1ff, v2, v1
	v_cvt_f32_f16_e32 v9, v9
	v_cndmask_b32_e64 v16, 0, 1, vcc_lo
	v_cmp_eq_u32_e32 vcc_lo, 0x40f, v17
	v_bfe_u32 v17, v2, 20, 11
	v_cndmask_b32_e32 v3, v14, v3, vcc_lo
	v_cmp_ne_u32_e32 vcc_lo, 0, v1
	v_or_b32_e32 v14, v15, v16
	v_lshrrev_b32_e32 v16, 8, v2
	v_lshl_or_b32 v15, v18, 12, v7
	v_cndmask_b32_e64 v1, 0, 1, vcc_lo
	v_cmp_gt_i32_e32 vcc_lo, 1, v18
	v_and_or_b32 v1, 0xffe, v16, v1
	v_sub_nc_u32_e32 v16, 0x3f1, v17
	v_cndmask_b32_e32 v14, v15, v14, vcc_lo
	v_and_or_b32 v15, 0x8000, v4, v3
	v_mul_f64 v[3:4], v[11:12], s[4:5]
	v_or_b32_e32 v21, 0x1000, v1
	v_med3_i32 v11, v16, 0, 13
	v_and_b32_e32 v19, 7, v14
	v_lshl_or_b32 v13, v15, 16, v13
	v_lshrrev_b32_e32 v12, 2, v14
	v_lshrrev_b32_e32 v15, v11, v21
	v_cmp_lt_i32_e32 vcc_lo, 5, v19
	v_cmp_eq_u32_e64 s0, 3, v19
	v_lshlrev_b32_e32 v11, v11, v15
	s_or_b32 vcc_lo, s0, vcc_lo
	v_add_co_ci_u32_e32 v14, vcc_lo, 0, v12, vcc_lo
	v_cmp_ne_u32_e32 vcc_lo, v11, v21
	v_cvt_f64_f32_e32 v[11:12], v9
	v_add_nc_u32_e32 v9, 0xfffffc10, v17
	v_and_or_b32 v3, 0x1ff, v4, v3
	v_cndmask_b32_e64 v16, 0, 1, vcc_lo
	v_cmp_gt_i32_e32 vcc_lo, 31, v18
	v_lshrrev_b32_e32 v17, 8, v4
	v_bfe_u32 v19, v4, 20, 11
	v_or_b32_e32 v15, v15, v16
	v_cndmask_b32_e32 v14, 0x7c00, v14, vcc_lo
	v_cmp_ne_u32_e32 vcc_lo, 0, v3
	v_lshl_or_b32 v16, v9, 12, v1
	v_cndmask_b32_e64 v3, 0, 1, vcc_lo
	v_cmp_ne_u32_e32 vcc_lo, 0, v7
	v_and_or_b32 v3, 0xffe, v17, v3
	v_cndmask_b32_e64 v7, 0, 1, vcc_lo
	v_cmp_gt_i32_e32 vcc_lo, 1, v9
	v_lshrrev_b32_e32 v17, 16, v10
	v_mul_f64 v[11:12], v[11:12], s[4:5]
	v_or_b32_e32 v21, 0x1000, v3
	v_lshl_or_b32 v7, v7, 9, 0x7c00
	v_cndmask_b32_e32 v15, v16, v15, vcc_lo
	v_sub_nc_u32_e32 v16, 0x3f1, v19
	v_cmp_eq_u32_e32 vcc_lo, 0x40f, v18
	v_mul_f16_sdwa v22, v30, v17 dst_sel:DWORD dst_unused:UNUSED_PAD src0_sel:WORD_1 src1_sel:DWORD
	v_add_nc_u32_e32 v19, 0xfffffc10, v19
	v_and_b32_e32 v20, 7, v15
	v_med3_i32 v16, v16, 0, 13
	v_cndmask_b32_e32 v7, v14, v7, vcc_lo
	v_fmac_f16_e32 v22, v30, v10
	v_mul_f16_sdwa v10, v30, v10 dst_sel:DWORD dst_unused:UNUSED_PAD src0_sel:WORD_1 src1_sel:DWORD
	v_cmp_lt_i32_e32 vcc_lo, 5, v20
	v_lshrrev_b32_e32 v14, v16, v21
	v_cmp_eq_u32_e64 s0, 3, v20
	v_and_or_b32 v18, 0x8000, v8, v7
	v_lshrrev_b32_e32 v7, 2, v15
	v_cvt_f32_f16_e32 v15, v22
	v_lshlrev_b32_e32 v8, v16, v14
	s_or_b32 vcc_lo, s0, vcc_lo
	v_add_co_ci_u32_e32 v16, vcc_lo, 0, v7, vcc_lo
	v_cmp_ne_u32_e32 vcc_lo, v8, v21
	v_cvt_f64_f32_e32 v[7:8], v15
	v_lshl_or_b32 v15, v19, 12, v3
	v_and_or_b32 v11, 0x1ff, v12, v11
	v_cndmask_b32_e64 v20, 0, 1, vcc_lo
	v_cmp_ne_u32_e32 vcc_lo, 0, v1
	v_or_b32_e32 v14, v14, v20
	v_cndmask_b32_e64 v1, 0, 1, vcc_lo
	v_cmp_gt_i32_e32 vcc_lo, 31, v9
	v_bfe_u32 v20, v12, 20, 11
	v_lshl_or_b32 v1, v1, 9, 0x7c00
	v_cndmask_b32_e32 v16, 0x7c00, v16, vcc_lo
	v_cmp_gt_i32_e32 vcc_lo, 1, v19
	v_cndmask_b32_e32 v14, v15, v14, vcc_lo
	v_cmp_ne_u32_e32 vcc_lo, 0, v11
	v_lshrrev_b32_e32 v15, 8, v12
	v_lshrrev_b32_e32 v12, 16, v12
	v_and_b32_e32 v21, 7, v14
	v_cndmask_b32_e64 v11, 0, 1, vcc_lo
	v_cmp_eq_u32_e32 vcc_lo, 0x40f, v9
	v_lshrrev_b32_e32 v14, 2, v14
	v_cmp_eq_u32_e64 s0, 3, v21
	v_and_or_b32 v11, 0xffe, v15, v11
	v_sub_nc_u32_e32 v15, 0x3f1, v20
	v_cndmask_b32_e32 v9, v16, v1, vcc_lo
	v_cmp_lt_i32_e32 vcc_lo, 5, v21
	v_lshrrev_b32_e32 v16, 16, v2
	v_mul_f64 v[1:2], v[7:8], s[4:5]
	v_or_b32_e32 v7, 0x1000, v11
	v_med3_i32 v8, v15, 0, 13
	s_or_b32 vcc_lo, s0, vcc_lo
	v_and_or_b32 v9, 0x8000, v16, v9
	v_add_co_ci_u32_e32 v14, vcc_lo, 0, v14, vcc_lo
	v_lshrrev_b32_e32 v16, v8, v7
	v_cmp_ne_u32_e32 vcc_lo, 0, v3
	v_and_b32_e32 v15, 0xffff, v18
	v_lshrrev_b32_e32 v18, 16, v0
	v_lshlrev_b32_e32 v8, v8, v16
	v_cndmask_b32_e64 v3, 0, 1, vcc_lo
	v_cmp_gt_i32_e32 vcc_lo, 31, v19
	v_lshl_or_b32 v15, v9, 16, v15
	v_mul_f16_sdwa v22, v29, v18 dst_sel:DWORD dst_unused:UNUSED_PAD src0_sel:WORD_1 src1_sel:DWORD
	v_lshl_or_b32 v3, v3, 9, 0x7c00
	v_cndmask_b32_e32 v9, 0x7c00, v14, vcc_lo
	v_cmp_ne_u32_e32 vcc_lo, v8, v7
	v_fma_f16 v8, v30, v17, -v10
	v_and_or_b32 v1, 0x1ff, v2, v1
	v_add_nc_u32_e32 v14, 0xfffffc10, v20
	v_bfe_u32 v17, v2, 20, 11
	v_cndmask_b32_e64 v7, 0, 1, vcc_lo
	v_cmp_eq_u32_e32 vcc_lo, 0x40f, v19
	v_lshrrev_b32_e32 v19, 16, v4
	v_lshl_or_b32 v10, v14, 12, v11
	v_fmac_f16_e32 v22, v29, v0
	v_mul_f16_sdwa v0, v29, v0 dst_sel:DWORD dst_unused:UNUSED_PAD src0_sel:WORD_1 src1_sel:DWORD
	v_cndmask_b32_e32 v9, v9, v3, vcc_lo
	v_cmp_ne_u32_e32 vcc_lo, 0, v1
	v_or_b32_e32 v3, v16, v7
	v_cvt_f32_f16_e32 v7, v8
	v_lshrrev_b32_e32 v16, 8, v2
	v_and_or_b32 v19, 0x8000, v19, v9
	v_cndmask_b32_e64 v1, 0, 1, vcc_lo
	v_cmp_gt_i32_e32 vcc_lo, 1, v14
	v_cvt_f64_f32_e32 v[7:8], v7
	v_fma_f16 v0, v29, v18, -v0
	v_lshrrev_b32_e32 v2, 16, v2
	v_and_or_b32 v16, 0xffe, v16, v1
	v_sub_nc_u32_e32 v1, 0x3f1, v17
	v_cndmask_b32_e32 v10, v10, v3, vcc_lo
	v_add_co_u32 v3, vcc_lo, v5, s3
	v_or_b32_e32 v21, 0x1000, v16
	v_med3_i32 v1, v1, 0, 13
	v_and_b32_e32 v20, 7, v10
	v_add_co_ci_u32_e32 v4, vcc_lo, s2, v6, vcc_lo
	v_lshrrev_b32_e32 v9, 2, v10
	v_lshrrev_b32_e32 v23, v1, v21
	v_cmp_lt_i32_e32 vcc_lo, 5, v20
	v_cmp_eq_u32_e64 s0, 3, v20
	v_cvt_f32_f16_e32 v10, v22
	v_add_nc_u32_e32 v17, 0xfffffc10, v17
	v_lshlrev_b32_e32 v1, v1, v23
	v_cvt_f32_f16_e32 v0, v0
	s_or_b32 vcc_lo, s0, vcc_lo
	v_mul_f64 v[7:8], v[7:8], s[4:5]
	v_add_co_ci_u32_e32 v20, vcc_lo, 0, v9, vcc_lo
	v_cmp_ne_u32_e32 vcc_lo, v1, v21
	v_cvt_f64_f32_e32 v[9:10], v10
	v_lshl_or_b32 v21, v17, 12, v16
	v_cndmask_b32_e64 v1, 0, 1, vcc_lo
	v_cmp_ne_u32_e32 vcc_lo, 0, v11
	v_or_b32_e32 v1, v23, v1
	v_cndmask_b32_e64 v11, 0, 1, vcc_lo
	v_cmp_gt_i32_e32 vcc_lo, 31, v14
	v_lshl_or_b32 v11, v11, 9, 0x7c00
	v_cndmask_b32_e32 v18, 0x7c00, v20, vcc_lo
	v_cmp_gt_i32_e32 vcc_lo, 1, v17
	v_and_or_b32 v7, 0x1ff, v8, v7
	v_cndmask_b32_e32 v20, v21, v1, vcc_lo
	v_cmp_eq_u32_e32 vcc_lo, 0x40f, v14
	v_mul_f64 v[9:10], v[9:10], s[4:5]
	v_cvt_f64_f32_e32 v[0:1], v0
	v_bfe_u32 v21, v8, 20, 11
	v_and_b32_e32 v14, 7, v20
	v_cndmask_b32_e32 v11, v18, v11, vcc_lo
	v_cmp_ne_u32_e32 vcc_lo, 0, v7
	v_lshrrev_b32_e32 v18, 8, v8
	v_lshrrev_b32_e32 v8, 16, v8
	v_cmp_eq_u32_e64 s0, 3, v14
	v_and_or_b32 v11, 0x8000, v12, v11
	v_and_b32_e32 v12, 0xffff, v19
	v_cndmask_b32_e64 v7, 0, 1, vcc_lo
	v_cmp_lt_i32_e32 vcc_lo, 5, v14
	v_lshl_or_b32 v11, v11, 16, v12
	v_lshrrev_b32_e32 v12, 2, v20
	v_and_or_b32 v7, 0xffe, v18, v7
	v_sub_nc_u32_e32 v18, 0x3f1, v21
	s_or_b32 vcc_lo, s0, vcc_lo
	v_add_co_ci_u32_e32 v12, vcc_lo, 0, v12, vcc_lo
	v_or_b32_e32 v14, 0x1000, v7
	v_med3_i32 v18, v18, 0, 13
	v_cmp_ne_u32_e32 vcc_lo, 0, v16
	v_and_or_b32 v9, 0x1ff, v10, v9
	v_mul_f64 v[0:1], v[0:1], s[4:5]
	v_lshrrev_b32_e32 v20, 8, v10
	v_lshrrev_b32_e32 v19, v18, v14
	v_cndmask_b32_e64 v16, 0, 1, vcc_lo
	v_cmp_gt_i32_e32 vcc_lo, 31, v17
	v_bfe_u32 v22, v10, 20, 11
	v_lshrrev_b32_e32 v10, 16, v10
	v_lshlrev_b32_e32 v18, v18, v19
	v_lshl_or_b32 v16, v16, 9, 0x7c00
	v_cndmask_b32_e32 v12, 0x7c00, v12, vcc_lo
	v_cmp_ne_u32_e32 vcc_lo, 0, v9
	v_cndmask_b32_e64 v9, 0, 1, vcc_lo
	v_cmp_ne_u32_e32 vcc_lo, v18, v14
	v_add_nc_u32_e32 v18, 0xfffffc10, v21
	v_and_or_b32 v9, 0xffe, v20, v9
	v_cndmask_b32_e64 v14, 0, 1, vcc_lo
	v_sub_nc_u32_e32 v20, 0x3f1, v22
	v_cmp_eq_u32_e32 vcc_lo, 0x40f, v17
	v_and_or_b32 v0, 0x1ff, v1, v0
	v_or_b32_e32 v17, 0x1000, v9
	v_or_b32_e32 v14, v19, v14
	v_med3_i32 v19, v20, 0, 13
	v_cndmask_b32_e32 v12, v12, v16, vcc_lo
	v_lshl_or_b32 v16, v18, 12, v7
	v_cmp_gt_i32_e32 vcc_lo, 1, v18
	v_lshrrev_b32_e32 v20, 8, v1
	v_bfe_u32 v21, v1, 20, 11
	v_and_or_b32 v2, 0x8000, v2, v12
	v_cndmask_b32_e32 v14, v16, v14, vcc_lo
	v_lshrrev_b32_e32 v16, v19, v17
	v_cmp_ne_u32_e32 vcc_lo, 0, v0
	v_sub_nc_u32_e32 v12, 0x3f1, v21
	v_and_b32_e32 v2, 0xffff, v2
	v_and_b32_e32 v23, 7, v14
	v_lshlrev_b32_e32 v19, v19, v16
	v_cndmask_b32_e64 v0, 0, 1, vcc_lo
	v_lshrrev_b32_e32 v14, 2, v14
	v_med3_i32 v12, v12, 0, 13
	v_cmp_lt_i32_e32 vcc_lo, 5, v23
	v_cmp_ne_u32_e64 s0, v19, v17
	v_and_or_b32 v0, 0xffe, v20, v0
	v_add_nc_u32_e32 v20, 0xfffffc10, v22
	v_cndmask_b32_e64 v17, 0, 1, s0
	v_cmp_eq_u32_e64 s0, 3, v23
	v_or_b32_e32 v19, 0x1000, v0
	v_lshl_or_b32 v22, v20, 12, v9
	v_or_b32_e32 v16, v16, v17
	s_or_b32 vcc_lo, s0, vcc_lo
	v_lshrrev_b32_e32 v17, v12, v19
	v_add_co_ci_u32_e32 v14, vcc_lo, 0, v14, vcc_lo
	v_cmp_gt_i32_e32 vcc_lo, 1, v20
	v_lshlrev_b32_e32 v12, v12, v17
	v_cndmask_b32_e32 v16, v22, v16, vcc_lo
	v_cmp_ne_u32_e32 vcc_lo, 0, v7
	v_cndmask_b32_e64 v7, 0, 1, vcc_lo
	v_cmp_ne_u32_e32 vcc_lo, v12, v19
	v_add_nc_u32_e32 v19, 0xfffffc10, v21
	v_and_b32_e32 v21, 7, v16
	v_lshl_or_b32 v7, v7, 9, 0x7c00
	v_cndmask_b32_e64 v12, 0, 1, vcc_lo
	v_cmp_gt_i32_e32 vcc_lo, 31, v18
	v_cmp_gt_i32_e64 s1, 1, v19
	v_cmp_eq_u32_e64 s0, 3, v21
	v_or_b32_e32 v12, v17, v12
	v_lshl_or_b32 v17, v19, 12, v0
	v_cndmask_b32_e32 v14, 0x7c00, v14, vcc_lo
	v_cmp_lt_i32_e32 vcc_lo, 5, v21
	v_cndmask_b32_e64 v12, v17, v12, s1
	v_cmp_eq_u32_e64 s1, 0x40f, v18
	s_or_b32 vcc_lo, s0, vcc_lo
	v_cndmask_b32_e64 v7, v14, v7, s1
	v_lshrrev_b32_e32 v14, 2, v16
	v_and_b32_e32 v16, 7, v12
	v_lshrrev_b32_e32 v12, 2, v12
	v_cmp_gt_i32_e64 s1, 31, v20
	v_and_or_b32 v7, 0x8000, v8, v7
	v_add_co_ci_u32_e32 v14, vcc_lo, 0, v14, vcc_lo
	v_cmp_ne_u32_e32 vcc_lo, 0, v9
	v_cmp_eq_u32_e64 s0, 3, v16
	v_lshl_or_b32 v2, v7, 16, v2
	v_cndmask_b32_e64 v14, 0x7c00, v14, s1
	v_cndmask_b32_e64 v9, 0, 1, vcc_lo
	v_cmp_lt_i32_e32 vcc_lo, 5, v16
	v_lshl_or_b32 v9, v9, 9, 0x7c00
	s_or_b32 vcc_lo, s0, vcc_lo
	v_add_co_ci_u32_e32 v12, vcc_lo, 0, v12, vcc_lo
	v_cmp_ne_u32_e32 vcc_lo, 0, v0
	v_cndmask_b32_e64 v0, 0, 1, vcc_lo
	v_cmp_eq_u32_e32 vcc_lo, 0x40f, v20
	v_lshl_or_b32 v0, v0, 9, 0x7c00
	v_cndmask_b32_e32 v9, v14, v9, vcc_lo
	v_cmp_gt_i32_e32 vcc_lo, 31, v19
	v_and_or_b32 v8, 0x8000, v10, v9
	v_cndmask_b32_e32 v12, 0x7c00, v12, vcc_lo
	v_cmp_eq_u32_e32 vcc_lo, 0x40f, v19
	v_lshrrev_b32_e32 v10, 16, v1
	v_cndmask_b32_e32 v9, v12, v0, vcc_lo
	v_add_co_u32 v0, vcc_lo, v3, s3
	v_add_co_ci_u32_e32 v1, vcc_lo, s2, v4, vcc_lo
	v_and_or_b32 v9, 0x8000, v10, v9
	v_and_b32_e32 v10, 0xffff, v8
	v_add_co_u32 v7, vcc_lo, v0, s3
	v_add_co_ci_u32_e32 v8, vcc_lo, s2, v1, vcc_lo
	v_lshl_or_b32 v12, v9, 16, v10
	v_add_co_u32 v9, vcc_lo, v7, s3
	v_add_co_ci_u32_e32 v10, vcc_lo, s2, v8, vcc_lo
	global_store_dword v[5:6], v13, off
	global_store_dword v[3:4], v15, off
	;; [unrolled: 1-line block ×5, first 2 shown]
.LBB0_18:
	s_endpgm
	.section	.rodata,"a",@progbits
	.p2align	6, 0x0
	.amdhsa_kernel bluestein_single_back_len264_dim1_half_op_CI_CI
		.amdhsa_group_segment_fixed_size 7392
		.amdhsa_private_segment_fixed_size 0
		.amdhsa_kernarg_size 104
		.amdhsa_user_sgpr_count 6
		.amdhsa_user_sgpr_private_segment_buffer 1
		.amdhsa_user_sgpr_dispatch_ptr 0
		.amdhsa_user_sgpr_queue_ptr 0
		.amdhsa_user_sgpr_kernarg_segment_ptr 1
		.amdhsa_user_sgpr_dispatch_id 0
		.amdhsa_user_sgpr_flat_scratch_init 0
		.amdhsa_user_sgpr_private_segment_size 0
		.amdhsa_wavefront_size32 1
		.amdhsa_uses_dynamic_stack 0
		.amdhsa_system_sgpr_private_segment_wavefront_offset 0
		.amdhsa_system_sgpr_workgroup_id_x 1
		.amdhsa_system_sgpr_workgroup_id_y 0
		.amdhsa_system_sgpr_workgroup_id_z 0
		.amdhsa_system_sgpr_workgroup_info 0
		.amdhsa_system_vgpr_workitem_id 0
		.amdhsa_next_free_vgpr 154
		.amdhsa_next_free_sgpr 20
		.amdhsa_reserve_vcc 1
		.amdhsa_reserve_flat_scratch 0
		.amdhsa_float_round_mode_32 0
		.amdhsa_float_round_mode_16_64 0
		.amdhsa_float_denorm_mode_32 3
		.amdhsa_float_denorm_mode_16_64 3
		.amdhsa_dx10_clamp 1
		.amdhsa_ieee_mode 1
		.amdhsa_fp16_overflow 0
		.amdhsa_workgroup_processor_mode 1
		.amdhsa_memory_ordered 1
		.amdhsa_forward_progress 0
		.amdhsa_shared_vgpr_count 0
		.amdhsa_exception_fp_ieee_invalid_op 0
		.amdhsa_exception_fp_denorm_src 0
		.amdhsa_exception_fp_ieee_div_zero 0
		.amdhsa_exception_fp_ieee_overflow 0
		.amdhsa_exception_fp_ieee_underflow 0
		.amdhsa_exception_fp_ieee_inexact 0
		.amdhsa_exception_int_div_zero 0
	.end_amdhsa_kernel
	.text
.Lfunc_end0:
	.size	bluestein_single_back_len264_dim1_half_op_CI_CI, .Lfunc_end0-bluestein_single_back_len264_dim1_half_op_CI_CI
                                        ; -- End function
	.section	.AMDGPU.csdata,"",@progbits
; Kernel info:
; codeLenInByte = 13432
; NumSgprs: 22
; NumVgprs: 154
; ScratchSize: 0
; MemoryBound: 0
; FloatMode: 240
; IeeeMode: 1
; LDSByteSize: 7392 bytes/workgroup (compile time only)
; SGPRBlocks: 2
; VGPRBlocks: 19
; NumSGPRsForWavesPerEU: 22
; NumVGPRsForWavesPerEU: 154
; Occupancy: 6
; WaveLimiterHint : 1
; COMPUTE_PGM_RSRC2:SCRATCH_EN: 0
; COMPUTE_PGM_RSRC2:USER_SGPR: 6
; COMPUTE_PGM_RSRC2:TRAP_HANDLER: 0
; COMPUTE_PGM_RSRC2:TGID_X_EN: 1
; COMPUTE_PGM_RSRC2:TGID_Y_EN: 0
; COMPUTE_PGM_RSRC2:TGID_Z_EN: 0
; COMPUTE_PGM_RSRC2:TIDIG_COMP_CNT: 0
	.text
	.p2alignl 6, 3214868480
	.fill 48, 4, 3214868480
	.type	__hip_cuid_95861dc394f4a114,@object ; @__hip_cuid_95861dc394f4a114
	.section	.bss,"aw",@nobits
	.globl	__hip_cuid_95861dc394f4a114
__hip_cuid_95861dc394f4a114:
	.byte	0                               ; 0x0
	.size	__hip_cuid_95861dc394f4a114, 1

	.ident	"AMD clang version 19.0.0git (https://github.com/RadeonOpenCompute/llvm-project roc-6.4.0 25133 c7fe45cf4b819c5991fe208aaa96edf142730f1d)"
	.section	".note.GNU-stack","",@progbits
	.addrsig
	.addrsig_sym __hip_cuid_95861dc394f4a114
	.amdgpu_metadata
---
amdhsa.kernels:
  - .args:
      - .actual_access:  read_only
        .address_space:  global
        .offset:         0
        .size:           8
        .value_kind:     global_buffer
      - .actual_access:  read_only
        .address_space:  global
        .offset:         8
        .size:           8
        .value_kind:     global_buffer
      - .actual_access:  read_only
        .address_space:  global
        .offset:         16
        .size:           8
        .value_kind:     global_buffer
      - .actual_access:  read_only
        .address_space:  global
        .offset:         24
        .size:           8
        .value_kind:     global_buffer
      - .actual_access:  read_only
        .address_space:  global
        .offset:         32
        .size:           8
        .value_kind:     global_buffer
      - .offset:         40
        .size:           8
        .value_kind:     by_value
      - .address_space:  global
        .offset:         48
        .size:           8
        .value_kind:     global_buffer
      - .address_space:  global
        .offset:         56
        .size:           8
        .value_kind:     global_buffer
      - .address_space:  global
        .offset:         64
        .size:           8
        .value_kind:     global_buffer
      - .address_space:  global
        .offset:         72
        .size:           8
        .value_kind:     global_buffer
      - .offset:         80
        .size:           4
        .value_kind:     by_value
      - .address_space:  global
        .offset:         88
        .size:           8
        .value_kind:     global_buffer
      - .address_space:  global
        .offset:         96
        .size:           8
        .value_kind:     global_buffer
    .group_segment_fixed_size: 7392
    .kernarg_segment_align: 8
    .kernarg_segment_size: 104
    .language:       OpenCL C
    .language_version:
      - 2
      - 0
    .max_flat_workgroup_size: 231
    .name:           bluestein_single_back_len264_dim1_half_op_CI_CI
    .private_segment_fixed_size: 0
    .sgpr_count:     22
    .sgpr_spill_count: 0
    .symbol:         bluestein_single_back_len264_dim1_half_op_CI_CI.kd
    .uniform_work_group_size: 1
    .uses_dynamic_stack: false
    .vgpr_count:     154
    .vgpr_spill_count: 0
    .wavefront_size: 32
    .workgroup_processor_mode: 1
amdhsa.target:   amdgcn-amd-amdhsa--gfx1030
amdhsa.version:
  - 1
  - 2
...

	.end_amdgpu_metadata
